;; amdgpu-corpus repo=ROCm/composable_kernel kind=compiled arch=gfx1100 opt=O3
	.text
	.amdgcn_target "amdgcn-amd-amdhsa--gfx1100"
	.amdhsa_code_object_version 6
	.section	.text._ZN2ckL12flush_icacheEv,"axG",@progbits,_ZN2ckL12flush_icacheEv,comdat
	.globl	_ZN2ckL12flush_icacheEv         ; -- Begin function _ZN2ckL12flush_icacheEv
	.p2align	8
	.type	_ZN2ckL12flush_icacheEv,@function
_ZN2ckL12flush_icacheEv:                ; @_ZN2ckL12flush_icacheEv
; %bb.0:
	;;#ASMSTART
	s_icache_inv 
	s_nop 0 
	s_nop 0 
	;; [unrolled: 1-line block ×16, first 2 shown]
	
	;;#ASMEND
	s_endpgm
	.section	.rodata,"a",@progbits
	.p2align	6, 0x0
	.amdhsa_kernel _ZN2ckL12flush_icacheEv
		.amdhsa_group_segment_fixed_size 0
		.amdhsa_private_segment_fixed_size 0
		.amdhsa_kernarg_size 0
		.amdhsa_user_sgpr_count 15
		.amdhsa_user_sgpr_dispatch_ptr 0
		.amdhsa_user_sgpr_queue_ptr 0
		.amdhsa_user_sgpr_kernarg_segment_ptr 0
		.amdhsa_user_sgpr_dispatch_id 0
		.amdhsa_user_sgpr_private_segment_size 0
		.amdhsa_wavefront_size32 1
		.amdhsa_uses_dynamic_stack 0
		.amdhsa_enable_private_segment 0
		.amdhsa_system_sgpr_workgroup_id_x 1
		.amdhsa_system_sgpr_workgroup_id_y 0
		.amdhsa_system_sgpr_workgroup_id_z 0
		.amdhsa_system_sgpr_workgroup_info 0
		.amdhsa_system_vgpr_workitem_id 0
		.amdhsa_next_free_vgpr 1
		.amdhsa_next_free_sgpr 1
		.amdhsa_reserve_vcc 0
		.amdhsa_float_round_mode_32 0
		.amdhsa_float_round_mode_16_64 0
		.amdhsa_float_denorm_mode_32 3
		.amdhsa_float_denorm_mode_16_64 3
		.amdhsa_dx10_clamp 1
		.amdhsa_ieee_mode 1
		.amdhsa_fp16_overflow 0
		.amdhsa_workgroup_processor_mode 1
		.amdhsa_memory_ordered 1
		.amdhsa_forward_progress 0
		.amdhsa_shared_vgpr_count 0
		.amdhsa_exception_fp_ieee_invalid_op 0
		.amdhsa_exception_fp_denorm_src 0
		.amdhsa_exception_fp_ieee_div_zero 0
		.amdhsa_exception_fp_ieee_overflow 0
		.amdhsa_exception_fp_ieee_underflow 0
		.amdhsa_exception_fp_ieee_inexact 0
		.amdhsa_exception_int_div_zero 0
	.end_amdhsa_kernel
	.section	.text._ZN2ckL12flush_icacheEv,"axG",@progbits,_ZN2ckL12flush_icacheEv,comdat
.Lfunc_end0:
	.size	_ZN2ckL12flush_icacheEv, .Lfunc_end0-_ZN2ckL12flush_icacheEv
                                        ; -- End function
	.section	.AMDGPU.csdata,"",@progbits
; Kernel info:
; codeLenInByte = 344
; NumSgprs: 0
; NumVgprs: 0
; ScratchSize: 0
; MemoryBound: 0
; FloatMode: 240
; IeeeMode: 1
; LDSByteSize: 0 bytes/workgroup (compile time only)
; SGPRBlocks: 0
; VGPRBlocks: 0
; NumSGPRsForWavesPerEU: 1
; NumVGPRsForWavesPerEU: 1
; Occupancy: 16
; WaveLimiterHint : 0
; COMPUTE_PGM_RSRC2:SCRATCH_EN: 0
; COMPUTE_PGM_RSRC2:USER_SGPR: 15
; COMPUTE_PGM_RSRC2:TRAP_HANDLER: 0
; COMPUTE_PGM_RSRC2:TGID_X_EN: 1
; COMPUTE_PGM_RSRC2:TGID_Y_EN: 0
; COMPUTE_PGM_RSRC2:TGID_Z_EN: 0
; COMPUTE_PGM_RSRC2:TIDIG_COMP_CNT: 0
	.text
	.p2align	2                               ; -- Begin function _ZNK2ck6detail15static_for_implINS_8SequenceIJLi1ELi2ELi3ELi4ELi5ELi6ELi7ELi8ELi9ELi10ELi11ELi12ELi13ELi14ELi15EEEEEclIZNKS_80BlockwiseGemmDl_A_BK0_BM_BK1_B_BK0_BN_BK1_C_BM0_BM1_BN0_BN1_pipeline_BM0_2_BN0_2ILi256EaaiKNS_16TensorDescriptorINS_5TupleIJNS_5EmbedINS8_IJNS_17integral_constantIiLi16EEENSA_IiLi128EEENSA_IiLi4EEEEEENS8_IJNSA_IiLi512EEESD_NSA_IiLi1EEEEEELb0EEEEEENS8_IJNS2_IJLi0EEEEEEENS8_IJNS2_IJLi1ELi2ELi3EEEEEEESM_NSA_IlLl8192EEEEESQ_Li4ELi4ELi1ENS2_IJLi8ELi2EEEESR_Li4ELi4ELb0EE3RunINS7_INS8_IJNS_7UnMergeINS8_IJNSA_IiLi2EEESD_SV_SD_EEELb0EEEEEESL_NS8_IJNS2_IJLi1ELi2ELi3ELi4EEEEEEESZ_NSA_IlLl64EEEEENS_13DynamicBufferILNS_16AddressSpaceEnumE2EaSO_Lb1ELNS_22AmdBufferCoherenceEnumE0EiEES16_NS_12StaticBufferILS14_4EiLi64ELb1EEEEEvRKT_RKT0_RKT1_RT2_EUlS19_E_EEvS19_
	.type	_ZNK2ck6detail15static_for_implINS_8SequenceIJLi1ELi2ELi3ELi4ELi5ELi6ELi7ELi8ELi9ELi10ELi11ELi12ELi13ELi14ELi15EEEEEclIZNKS_80BlockwiseGemmDl_A_BK0_BM_BK1_B_BK0_BN_BK1_C_BM0_BM1_BN0_BN1_pipeline_BM0_2_BN0_2ILi256EaaiKNS_16TensorDescriptorINS_5TupleIJNS_5EmbedINS8_IJNS_17integral_constantIiLi16EEENSA_IiLi128EEENSA_IiLi4EEEEEENS8_IJNSA_IiLi512EEESD_NSA_IiLi1EEEEEELb0EEEEEENS8_IJNS2_IJLi0EEEEEEENS8_IJNS2_IJLi1ELi2ELi3EEEEEEESM_NSA_IlLl8192EEEEESQ_Li4ELi4ELi1ENS2_IJLi8ELi2EEEESR_Li4ELi4ELb0EE3RunINS7_INS8_IJNS_7UnMergeINS8_IJNSA_IiLi2EEESD_SV_SD_EEELb0EEEEEESL_NS8_IJNS2_IJLi1ELi2ELi3ELi4EEEEEEESZ_NSA_IlLl64EEEEENS_13DynamicBufferILNS_16AddressSpaceEnumE2EaSO_Lb1ELNS_22AmdBufferCoherenceEnumE0EiEES16_NS_12StaticBufferILS14_4EiLi64ELb1EEEEEvRKT_RKT0_RKT1_RT2_EUlS19_E_EEvS19_,@function
_ZNK2ck6detail15static_for_implINS_8SequenceIJLi1ELi2ELi3ELi4ELi5ELi6ELi7ELi8ELi9ELi10ELi11ELi12ELi13ELi14ELi15EEEEEclIZNKS_80BlockwiseGemmDl_A_BK0_BM_BK1_B_BK0_BN_BK1_C_BM0_BM1_BN0_BN1_pipeline_BM0_2_BN0_2ILi256EaaiKNS_16TensorDescriptorINS_5TupleIJNS_5EmbedINS8_IJNS_17integral_constantIiLi16EEENSA_IiLi128EEENSA_IiLi4EEEEEENS8_IJNSA_IiLi512EEESD_NSA_IiLi1EEEEEELb0EEEEEENS8_IJNS2_IJLi0EEEEEEENS8_IJNS2_IJLi1ELi2ELi3EEEEEEESM_NSA_IlLl8192EEEEESQ_Li4ELi4ELi1ENS2_IJLi8ELi2EEEESR_Li4ELi4ELb0EE3RunINS7_INS8_IJNS_7UnMergeINS8_IJNSA_IiLi2EEESD_SV_SD_EEELb0EEEEEESL_NS8_IJNS2_IJLi1ELi2ELi3ELi4EEEEEEESZ_NSA_IlLl64EEEEENS_13DynamicBufferILNS_16AddressSpaceEnumE2EaSO_Lb1ELNS_22AmdBufferCoherenceEnumE0EiEES16_NS_12StaticBufferILS14_4EiLi64ELb1EEEEEvRKT_RKT0_RKT1_RT2_EUlS19_E_EEvS19_: ; @_ZNK2ck6detail15static_for_implINS_8SequenceIJLi1ELi2ELi3ELi4ELi5ELi6ELi7ELi8ELi9ELi10ELi11ELi12ELi13ELi14ELi15EEEEEclIZNKS_80BlockwiseGemmDl_A_BK0_BM_BK1_B_BK0_BN_BK1_C_BM0_BM1_BN0_BN1_pipeline_BM0_2_BN0_2ILi256EaaiKNS_16TensorDescriptorINS_5TupleIJNS_5EmbedINS8_IJNS_17integral_constantIiLi16EEENSA_IiLi128EEENSA_IiLi4EEEEEENS8_IJNSA_IiLi512EEESD_NSA_IiLi1EEEEEELb0EEEEEENS8_IJNS2_IJLi0EEEEEEENS8_IJNS2_IJLi1ELi2ELi3EEEEEEESM_NSA_IlLl8192EEEEESQ_Li4ELi4ELi1ENS2_IJLi8ELi2EEEESR_Li4ELi4ELb0EE3RunINS7_INS8_IJNS_7UnMergeINS8_IJNSA_IiLi2EEESD_SV_SD_EEELb0EEEEEESL_NS8_IJNS2_IJLi1ELi2ELi3ELi4EEEEEEESZ_NSA_IlLl64EEEEENS_13DynamicBufferILNS_16AddressSpaceEnumE2EaSO_Lb1ELNS_22AmdBufferCoherenceEnumE0EiEES16_NS_12StaticBufferILS14_4EiLi64ELb1EEEEEvRKT_RKT0_RKT1_RT2_EUlS19_E_EEvS19_
; %bb.0:
	s_waitcnt vmcnt(0) expcnt(0) lgkmcnt(0)
	flat_load_b32 v14, v[0:1] offset:16
	flat_load_b64 v[12:13], v[2:3]
	s_waitcnt vmcnt(1) lgkmcnt(1)
	v_ashrrev_i32_e32 v15, 31, v14
	s_waitcnt vmcnt(0) lgkmcnt(0)
	v_add_co_u32 v12, vcc_lo, v12, v14
	s_delay_alu instid0(VALU_DEP_2)
	v_add_co_ci_u32_e32 v13, vcc_lo, v13, v15, vcc_lo
	flat_load_b128 v[12:15], v[12:13] offset:512
	flat_load_b32 v20, v[4:5] offset:16
	s_waitcnt vmcnt(1) lgkmcnt(1)
	flat_store_b128 v[4:5], v[12:15]
	flat_load_b32 v21, v[6:7]
	s_clause 0x1
	flat_load_b128 v[12:15], v[8:9] offset:128
	flat_load_b128 v[16:19], v[8:9] offset:160
	s_waitcnt vmcnt(1) lgkmcnt(1)
	v_dot4_i32_iu8 v12, v20, v21, v12 neg_lo:[1,1,0]
	flat_store_b32 v[8:9], v12 offset:128
	flat_load_b32 v12, v[4:5] offset:16
	flat_load_b32 v20, v[6:7] offset:4
	s_waitcnt vmcnt(0) lgkmcnt(0)
	v_dot4_i32_iu8 v12, v12, v20, v13 neg_lo:[1,1,0]
	flat_store_b32 v[8:9], v12 offset:132
	flat_load_b32 v12, v[4:5] offset:16
	flat_load_b32 v13, v[6:7] offset:8
	;; [unrolled: 5-line block ×3, first 2 shown]
	s_waitcnt vmcnt(0) lgkmcnt(0)
	v_dot4_i32_iu8 v12, v12, v13, v15 neg_lo:[1,1,0]
	flat_store_b32 v[8:9], v12 offset:140
	flat_load_b32 v12, v[4:5] offset:20
	flat_load_b32 v13, v[6:7]
	s_waitcnt vmcnt(0) lgkmcnt(0)
	v_dot4_i32_iu8 v12, v12, v13, v16 neg_lo:[1,1,0]
	flat_store_b32 v[8:9], v12 offset:160
	flat_load_b32 v12, v[4:5] offset:20
	flat_load_b32 v13, v[6:7] offset:4
	s_waitcnt vmcnt(0) lgkmcnt(0)
	v_dot4_i32_iu8 v12, v12, v13, v17 neg_lo:[1,1,0]
	flat_store_b32 v[8:9], v12 offset:164
	flat_load_b32 v12, v[4:5] offset:20
	flat_load_b32 v13, v[6:7] offset:8
	;; [unrolled: 5-line block ×3, first 2 shown]
	s_waitcnt vmcnt(0) lgkmcnt(0)
	v_dot4_i32_iu8 v12, v12, v13, v19 neg_lo:[1,1,0]
	flat_store_b32 v[8:9], v12 offset:172
	flat_load_b32 v20, v[4:5] offset:24
	flat_load_b32 v21, v[6:7]
	s_clause 0x1
	flat_load_b128 v[12:15], v[8:9] offset:192
	flat_load_b128 v[16:19], v[8:9] offset:224
	s_waitcnt vmcnt(1) lgkmcnt(1)
	v_dot4_i32_iu8 v12, v20, v21, v12 neg_lo:[1,1,0]
	flat_store_b32 v[8:9], v12 offset:192
	flat_load_b32 v12, v[4:5] offset:24
	flat_load_b32 v20, v[6:7] offset:4
	s_waitcnt vmcnt(0) lgkmcnt(0)
	v_dot4_i32_iu8 v12, v12, v20, v13 neg_lo:[1,1,0]
	flat_store_b32 v[8:9], v12 offset:196
	flat_load_b32 v12, v[4:5] offset:24
	flat_load_b32 v13, v[6:7] offset:8
	;; [unrolled: 5-line block ×3, first 2 shown]
	s_waitcnt vmcnt(0) lgkmcnt(0)
	v_dot4_i32_iu8 v12, v12, v13, v15 neg_lo:[1,1,0]
	flat_store_b32 v[8:9], v12 offset:204
	flat_load_b32 v12, v[4:5] offset:28
	flat_load_b32 v13, v[6:7]
	s_waitcnt vmcnt(0) lgkmcnt(0)
	v_dot4_i32_iu8 v12, v12, v13, v16 neg_lo:[1,1,0]
	flat_store_b32 v[8:9], v12 offset:224
	flat_load_b32 v12, v[4:5] offset:28
	flat_load_b32 v13, v[6:7] offset:4
	s_waitcnt vmcnt(0) lgkmcnt(0)
	v_dot4_i32_iu8 v12, v12, v13, v17 neg_lo:[1,1,0]
	flat_store_b32 v[8:9], v12 offset:228
	flat_load_b32 v12, v[4:5] offset:28
	flat_load_b32 v13, v[6:7] offset:8
	;; [unrolled: 5-line block ×3, first 2 shown]
	s_waitcnt vmcnt(0) lgkmcnt(0)
	v_dot4_i32_iu8 v12, v12, v13, v19 neg_lo:[1,1,0]
	flat_store_b32 v[8:9], v12 offset:236
	flat_load_b32 v14, v[0:1] offset:48
	flat_load_b64 v[12:13], v[10:11]
	s_waitcnt vmcnt(1) lgkmcnt(1)
	v_ashrrev_i32_e32 v15, 31, v14
	s_waitcnt vmcnt(0) lgkmcnt(0)
	v_add_co_u32 v12, vcc_lo, v12, v14
	s_delay_alu instid0(VALU_DEP_2)
	v_add_co_ci_u32_e32 v13, vcc_lo, v13, v15, vcc_lo
	flat_load_b128 v[12:15], v[12:13] offset:512
	flat_load_b32 v20, v[6:7] offset:16
	s_waitcnt vmcnt(1) lgkmcnt(1)
	flat_store_b128 v[6:7], v[12:15]
	flat_load_b32 v21, v[4:5] offset:16
	s_clause 0x1
	flat_load_b128 v[12:15], v[8:9] offset:144
	flat_load_b128 v[16:19], v[8:9] offset:176
	s_waitcnt vmcnt(1) lgkmcnt(1)
	v_dot4_i32_iu8 v12, v21, v20, v12 neg_lo:[1,1,0]
	flat_store_b32 v[8:9], v12 offset:144
	flat_load_b32 v12, v[4:5] offset:16
	flat_load_b32 v20, v[6:7] offset:20
	s_waitcnt vmcnt(0) lgkmcnt(0)
	v_dot4_i32_iu8 v12, v12, v20, v13 neg_lo:[1,1,0]
	flat_store_b32 v[8:9], v12 offset:148
	flat_load_b32 v12, v[4:5] offset:16
	flat_load_b32 v13, v[6:7] offset:24
	;; [unrolled: 5-line block ×8, first 2 shown]
	s_clause 0x1
	flat_load_b128 v[12:15], v[8:9] offset:208
	flat_load_b128 v[16:19], v[8:9] offset:240
	s_waitcnt vmcnt(1) lgkmcnt(1)
	v_dot4_i32_iu8 v12, v20, v21, v12 neg_lo:[1,1,0]
	flat_store_b32 v[8:9], v12 offset:208
	flat_load_b32 v12, v[4:5] offset:24
	flat_load_b32 v20, v[6:7] offset:20
	s_waitcnt vmcnt(0) lgkmcnt(0)
	v_dot4_i32_iu8 v12, v12, v20, v13 neg_lo:[1,1,0]
	flat_store_b32 v[8:9], v12 offset:212
	flat_load_b32 v12, v[4:5] offset:24
	flat_load_b32 v13, v[6:7] offset:24
	;; [unrolled: 5-line block ×7, first 2 shown]
	s_waitcnt vmcnt(0) lgkmcnt(0)
	v_dot4_i32_iu8 v12, v12, v13, v19 neg_lo:[1,1,0]
	flat_store_b32 v[8:9], v12 offset:252
	flat_load_b32 v14, v[0:1] offset:48
	flat_load_b64 v[12:13], v[10:11]
	s_waitcnt vmcnt(1) lgkmcnt(1)
	v_ashrrev_i32_e32 v15, 31, v14
	s_waitcnt vmcnt(0) lgkmcnt(0)
	v_add_co_u32 v12, vcc_lo, v12, v14
	s_delay_alu instid0(VALU_DEP_2)
	v_add_co_ci_u32_e32 v13, vcc_lo, v13, v15, vcc_lo
	flat_load_b128 v[12:15], v[12:13] offset:768
	s_waitcnt vmcnt(0) lgkmcnt(0)
	flat_store_b128 v[6:7], v[12:15] offset:16
	flat_load_b32 v14, v[0:1] offset:16
	flat_load_b64 v[12:13], v[2:3]
	s_waitcnt vmcnt(1) lgkmcnt(1)
	v_ashrrev_i32_e32 v15, 31, v14
	s_waitcnt vmcnt(0) lgkmcnt(0)
	v_add_co_u32 v12, vcc_lo, v12, v14
	s_delay_alu instid0(VALU_DEP_2)
	v_add_co_ci_u32_e32 v13, vcc_lo, v13, v15, vcc_lo
	flat_load_b128 v[12:15], v[12:13] offset:768
	flat_load_b32 v20, v[4:5]
	s_waitcnt vmcnt(1) lgkmcnt(1)
	flat_store_b128 v[4:5], v[12:15] offset:16
	flat_load_b32 v21, v[6:7]
	s_clause 0x1
	flat_load_b128 v[12:15], v[8:9]
	flat_load_b128 v[16:19], v[8:9] offset:16
	s_waitcnt vmcnt(1) lgkmcnt(1)
	v_dot4_i32_iu8 v12, v20, v21, v12 neg_lo:[1,1,0]
	flat_store_b32 v[8:9], v12
	flat_load_b32 v12, v[4:5]
	flat_load_b32 v20, v[6:7] offset:4
	s_waitcnt vmcnt(0) lgkmcnt(0)
	v_dot4_i32_iu8 v12, v12, v20, v13 neg_lo:[1,1,0]
	flat_store_b32 v[8:9], v12 offset:4
	flat_load_b32 v12, v[4:5]
	flat_load_b32 v13, v[6:7] offset:8
	s_waitcnt vmcnt(0) lgkmcnt(0)
	v_dot4_i32_iu8 v12, v12, v13, v14 neg_lo:[1,1,0]
	flat_store_b32 v[8:9], v12 offset:8
	flat_load_b32 v12, v[4:5]
	flat_load_b32 v13, v[6:7] offset:12
	s_waitcnt vmcnt(0) lgkmcnt(0)
	v_dot4_i32_iu8 v12, v12, v13, v15 neg_lo:[1,1,0]
	flat_store_b32 v[8:9], v12 offset:12
	flat_load_b32 v24, v[4:5] offset:4
	flat_load_b32 v25, v[6:7]
	s_clause 0x1
	flat_load_b128 v[12:15], v[8:9] offset:32
	flat_load_b128 v[20:23], v[8:9] offset:48
	s_waitcnt vmcnt(1) lgkmcnt(1)
	v_dot4_i32_iu8 v12, v24, v25, v12 neg_lo:[1,1,0]
	flat_store_b32 v[8:9], v12 offset:32
	flat_load_b32 v12, v[4:5] offset:4
	flat_load_b32 v24, v[6:7] offset:4
	s_waitcnt vmcnt(0) lgkmcnt(0)
	v_dot4_i32_iu8 v12, v12, v24, v13 neg_lo:[1,1,0]
	flat_store_b32 v[8:9], v12 offset:36
	flat_load_b32 v12, v[4:5] offset:4
	flat_load_b32 v13, v[6:7] offset:8
	s_waitcnt vmcnt(0) lgkmcnt(0)
	v_dot4_i32_iu8 v12, v12, v13, v14 neg_lo:[1,1,0]
	flat_store_b32 v[8:9], v12 offset:40
	flat_load_b32 v12, v[4:5] offset:4
	flat_load_b32 v13, v[6:7] offset:12
	s_waitcnt vmcnt(0) lgkmcnt(0)
	v_dot4_i32_iu8 v12, v12, v13, v15 neg_lo:[1,1,0]
	flat_store_b32 v[8:9], v12 offset:44
	flat_load_b32 v28, v[4:5] offset:8
	flat_load_b32 v29, v[6:7]
	s_clause 0x1
	flat_load_b128 v[12:15], v[8:9] offset:64
	flat_load_b128 v[24:27], v[8:9] offset:80
	s_waitcnt vmcnt(1) lgkmcnt(1)
	v_dot4_i32_iu8 v12, v28, v29, v12 neg_lo:[1,1,0]
	flat_store_b32 v[8:9], v12 offset:64
	flat_load_b32 v12, v[4:5] offset:8
	flat_load_b32 v28, v[6:7] offset:4
	s_waitcnt vmcnt(0) lgkmcnt(0)
	v_dot4_i32_iu8 v12, v12, v28, v13 neg_lo:[1,1,0]
	flat_store_b32 v[8:9], v12 offset:68
	flat_load_b32 v12, v[4:5] offset:8
	flat_load_b32 v13, v[6:7] offset:8
	s_waitcnt vmcnt(0) lgkmcnt(0)
	v_dot4_i32_iu8 v12, v12, v13, v14 neg_lo:[1,1,0]
	flat_store_b32 v[8:9], v12 offset:72
	flat_load_b32 v12, v[4:5] offset:8
	flat_load_b32 v13, v[6:7] offset:12
	s_waitcnt vmcnt(0) lgkmcnt(0)
	v_dot4_i32_iu8 v12, v12, v13, v15 neg_lo:[1,1,0]
	flat_store_b32 v[8:9], v12 offset:76
	;; [unrolled: 23-line block ×3, first 2 shown]
	flat_load_b32 v12, v[4:5]
	flat_load_b32 v13, v[6:7] offset:16
	s_waitcnt vmcnt(0) lgkmcnt(0)
	v_dot4_i32_iu8 v12, v12, v13, v16 neg_lo:[1,1,0]
	flat_store_b32 v[8:9], v12 offset:16
	flat_load_b32 v12, v[4:5]
	flat_load_b32 v13, v[6:7] offset:20
	s_waitcnt vmcnt(0) lgkmcnt(0)
	v_dot4_i32_iu8 v12, v12, v13, v17 neg_lo:[1,1,0]
	flat_store_b32 v[8:9], v12 offset:20
	;; [unrolled: 5-line block ×4, first 2 shown]
	flat_load_b32 v12, v[4:5] offset:4
	flat_load_b32 v13, v[6:7] offset:16
	s_waitcnt vmcnt(0) lgkmcnt(0)
	v_dot4_i32_iu8 v12, v12, v13, v20 neg_lo:[1,1,0]
	flat_store_b32 v[8:9], v12 offset:48
	flat_load_b32 v12, v[4:5] offset:4
	flat_load_b32 v13, v[6:7] offset:20
	s_waitcnt vmcnt(0) lgkmcnt(0)
	v_dot4_i32_iu8 v12, v12, v13, v21 neg_lo:[1,1,0]
	flat_store_b32 v[8:9], v12 offset:52
	;; [unrolled: 5-line block ×12, first 2 shown]
	flat_load_b32 v14, v[0:1] offset:16
	flat_load_b64 v[12:13], v[2:3]
	s_waitcnt vmcnt(1) lgkmcnt(1)
	v_ashrrev_i32_e32 v15, 31, v14
	s_waitcnt vmcnt(0) lgkmcnt(0)
	v_add_co_u32 v12, vcc_lo, v12, v14
	s_delay_alu instid0(VALU_DEP_2)
	v_add_co_ci_u32_e32 v13, vcc_lo, v13, v15, vcc_lo
	flat_load_b128 v[12:15], v[12:13] offset:1024
	flat_load_b32 v20, v[4:5] offset:16
	s_waitcnt vmcnt(1) lgkmcnt(1)
	flat_store_b128 v[4:5], v[12:15]
	flat_load_b32 v21, v[6:7]
	s_clause 0x1
	flat_load_b128 v[12:15], v[8:9] offset:128
	flat_load_b128 v[16:19], v[8:9] offset:160
	s_waitcnt vmcnt(1) lgkmcnt(1)
	v_dot4_i32_iu8 v12, v20, v21, v12 neg_lo:[1,1,0]
	flat_store_b32 v[8:9], v12 offset:128
	flat_load_b32 v12, v[4:5] offset:16
	flat_load_b32 v20, v[6:7] offset:4
	s_waitcnt vmcnt(0) lgkmcnt(0)
	v_dot4_i32_iu8 v12, v12, v20, v13 neg_lo:[1,1,0]
	flat_store_b32 v[8:9], v12 offset:132
	flat_load_b32 v12, v[4:5] offset:16
	flat_load_b32 v13, v[6:7] offset:8
	;; [unrolled: 5-line block ×3, first 2 shown]
	s_waitcnt vmcnt(0) lgkmcnt(0)
	v_dot4_i32_iu8 v12, v12, v13, v15 neg_lo:[1,1,0]
	flat_store_b32 v[8:9], v12 offset:140
	flat_load_b32 v12, v[4:5] offset:20
	flat_load_b32 v13, v[6:7]
	s_waitcnt vmcnt(0) lgkmcnt(0)
	v_dot4_i32_iu8 v12, v12, v13, v16 neg_lo:[1,1,0]
	flat_store_b32 v[8:9], v12 offset:160
	flat_load_b32 v12, v[4:5] offset:20
	flat_load_b32 v13, v[6:7] offset:4
	s_waitcnt vmcnt(0) lgkmcnt(0)
	v_dot4_i32_iu8 v12, v12, v13, v17 neg_lo:[1,1,0]
	flat_store_b32 v[8:9], v12 offset:164
	flat_load_b32 v12, v[4:5] offset:20
	flat_load_b32 v13, v[6:7] offset:8
	;; [unrolled: 5-line block ×3, first 2 shown]
	s_waitcnt vmcnt(0) lgkmcnt(0)
	v_dot4_i32_iu8 v12, v12, v13, v19 neg_lo:[1,1,0]
	flat_store_b32 v[8:9], v12 offset:172
	flat_load_b32 v20, v[4:5] offset:24
	flat_load_b32 v21, v[6:7]
	s_clause 0x1
	flat_load_b128 v[12:15], v[8:9] offset:192
	flat_load_b128 v[16:19], v[8:9] offset:224
	s_waitcnt vmcnt(1) lgkmcnt(1)
	v_dot4_i32_iu8 v12, v20, v21, v12 neg_lo:[1,1,0]
	flat_store_b32 v[8:9], v12 offset:192
	flat_load_b32 v12, v[4:5] offset:24
	flat_load_b32 v20, v[6:7] offset:4
	s_waitcnt vmcnt(0) lgkmcnt(0)
	v_dot4_i32_iu8 v12, v12, v20, v13 neg_lo:[1,1,0]
	flat_store_b32 v[8:9], v12 offset:196
	flat_load_b32 v12, v[4:5] offset:24
	flat_load_b32 v13, v[6:7] offset:8
	;; [unrolled: 5-line block ×3, first 2 shown]
	s_waitcnt vmcnt(0) lgkmcnt(0)
	v_dot4_i32_iu8 v12, v12, v13, v15 neg_lo:[1,1,0]
	flat_store_b32 v[8:9], v12 offset:204
	flat_load_b32 v12, v[4:5] offset:28
	flat_load_b32 v13, v[6:7]
	s_waitcnt vmcnt(0) lgkmcnt(0)
	v_dot4_i32_iu8 v12, v12, v13, v16 neg_lo:[1,1,0]
	flat_store_b32 v[8:9], v12 offset:224
	flat_load_b32 v12, v[4:5] offset:28
	flat_load_b32 v13, v[6:7] offset:4
	s_waitcnt vmcnt(0) lgkmcnt(0)
	v_dot4_i32_iu8 v12, v12, v13, v17 neg_lo:[1,1,0]
	flat_store_b32 v[8:9], v12 offset:228
	flat_load_b32 v12, v[4:5] offset:28
	flat_load_b32 v13, v[6:7] offset:8
	s_waitcnt vmcnt(0) lgkmcnt(0)
	v_dot4_i32_iu8 v12, v12, v13, v18 neg_lo:[1,1,0]
	flat_store_b32 v[8:9], v12 offset:232
	flat_load_b32 v12, v[4:5] offset:28
	flat_load_b32 v13, v[6:7] offset:12
	s_waitcnt vmcnt(0) lgkmcnt(0)
	v_dot4_i32_iu8 v12, v12, v13, v19 neg_lo:[1,1,0]
	flat_store_b32 v[8:9], v12 offset:236
	flat_load_b32 v14, v[0:1] offset:48
	flat_load_b64 v[12:13], v[10:11]
	s_waitcnt vmcnt(1) lgkmcnt(1)
	v_ashrrev_i32_e32 v15, 31, v14
	s_waitcnt vmcnt(0) lgkmcnt(0)
	v_add_co_u32 v12, vcc_lo, v12, v14
	s_delay_alu instid0(VALU_DEP_2)
	v_add_co_ci_u32_e32 v13, vcc_lo, v13, v15, vcc_lo
	flat_load_b128 v[12:15], v[12:13] offset:1024
	flat_load_b32 v20, v[6:7] offset:16
	s_waitcnt vmcnt(1) lgkmcnt(1)
	flat_store_b128 v[6:7], v[12:15]
	flat_load_b32 v21, v[4:5] offset:16
	s_clause 0x1
	flat_load_b128 v[12:15], v[8:9] offset:144
	flat_load_b128 v[16:19], v[8:9] offset:176
	s_waitcnt vmcnt(1) lgkmcnt(1)
	v_dot4_i32_iu8 v12, v21, v20, v12 neg_lo:[1,1,0]
	flat_store_b32 v[8:9], v12 offset:144
	flat_load_b32 v12, v[4:5] offset:16
	flat_load_b32 v20, v[6:7] offset:20
	s_waitcnt vmcnt(0) lgkmcnt(0)
	v_dot4_i32_iu8 v12, v12, v20, v13 neg_lo:[1,1,0]
	flat_store_b32 v[8:9], v12 offset:148
	flat_load_b32 v12, v[4:5] offset:16
	flat_load_b32 v13, v[6:7] offset:24
	;; [unrolled: 5-line block ×8, first 2 shown]
	s_clause 0x1
	flat_load_b128 v[12:15], v[8:9] offset:208
	flat_load_b128 v[16:19], v[8:9] offset:240
	s_waitcnt vmcnt(1) lgkmcnt(1)
	v_dot4_i32_iu8 v12, v20, v21, v12 neg_lo:[1,1,0]
	flat_store_b32 v[8:9], v12 offset:208
	flat_load_b32 v12, v[4:5] offset:24
	flat_load_b32 v20, v[6:7] offset:20
	s_waitcnt vmcnt(0) lgkmcnt(0)
	v_dot4_i32_iu8 v12, v12, v20, v13 neg_lo:[1,1,0]
	flat_store_b32 v[8:9], v12 offset:212
	flat_load_b32 v12, v[4:5] offset:24
	flat_load_b32 v13, v[6:7] offset:24
	;; [unrolled: 5-line block ×7, first 2 shown]
	s_waitcnt vmcnt(0) lgkmcnt(0)
	v_dot4_i32_iu8 v12, v12, v13, v19 neg_lo:[1,1,0]
	flat_store_b32 v[8:9], v12 offset:252
	flat_load_b32 v14, v[0:1] offset:48
	flat_load_b64 v[12:13], v[10:11]
	s_waitcnt vmcnt(1) lgkmcnt(1)
	v_ashrrev_i32_e32 v15, 31, v14
	s_waitcnt vmcnt(0) lgkmcnt(0)
	v_add_co_u32 v12, vcc_lo, v12, v14
	s_delay_alu instid0(VALU_DEP_2)
	v_add_co_ci_u32_e32 v13, vcc_lo, v13, v15, vcc_lo
	flat_load_b128 v[12:15], v[12:13] offset:1280
	s_waitcnt vmcnt(0) lgkmcnt(0)
	flat_store_b128 v[6:7], v[12:15] offset:16
	flat_load_b32 v14, v[0:1] offset:16
	flat_load_b64 v[12:13], v[2:3]
	s_waitcnt vmcnt(1) lgkmcnt(1)
	v_ashrrev_i32_e32 v15, 31, v14
	s_waitcnt vmcnt(0) lgkmcnt(0)
	v_add_co_u32 v12, vcc_lo, v12, v14
	s_delay_alu instid0(VALU_DEP_2)
	v_add_co_ci_u32_e32 v13, vcc_lo, v13, v15, vcc_lo
	flat_load_b128 v[12:15], v[12:13] offset:1280
	flat_load_b32 v20, v[4:5]
	s_waitcnt vmcnt(1) lgkmcnt(1)
	flat_store_b128 v[4:5], v[12:15] offset:16
	flat_load_b32 v21, v[6:7]
	s_clause 0x1
	flat_load_b128 v[12:15], v[8:9]
	flat_load_b128 v[16:19], v[8:9] offset:16
	s_waitcnt vmcnt(1) lgkmcnt(1)
	v_dot4_i32_iu8 v12, v20, v21, v12 neg_lo:[1,1,0]
	flat_store_b32 v[8:9], v12
	flat_load_b32 v12, v[4:5]
	flat_load_b32 v20, v[6:7] offset:4
	s_waitcnt vmcnt(0) lgkmcnt(0)
	v_dot4_i32_iu8 v12, v12, v20, v13 neg_lo:[1,1,0]
	flat_store_b32 v[8:9], v12 offset:4
	flat_load_b32 v12, v[4:5]
	flat_load_b32 v13, v[6:7] offset:8
	s_waitcnt vmcnt(0) lgkmcnt(0)
	v_dot4_i32_iu8 v12, v12, v13, v14 neg_lo:[1,1,0]
	flat_store_b32 v[8:9], v12 offset:8
	;; [unrolled: 5-line block ×3, first 2 shown]
	flat_load_b32 v24, v[4:5] offset:4
	flat_load_b32 v25, v[6:7]
	s_clause 0x1
	flat_load_b128 v[12:15], v[8:9] offset:32
	flat_load_b128 v[20:23], v[8:9] offset:48
	s_waitcnt vmcnt(1) lgkmcnt(1)
	v_dot4_i32_iu8 v12, v24, v25, v12 neg_lo:[1,1,0]
	flat_store_b32 v[8:9], v12 offset:32
	flat_load_b32 v12, v[4:5] offset:4
	flat_load_b32 v24, v[6:7] offset:4
	s_waitcnt vmcnt(0) lgkmcnt(0)
	v_dot4_i32_iu8 v12, v12, v24, v13 neg_lo:[1,1,0]
	flat_store_b32 v[8:9], v12 offset:36
	flat_load_b32 v12, v[4:5] offset:4
	flat_load_b32 v13, v[6:7] offset:8
	s_waitcnt vmcnt(0) lgkmcnt(0)
	v_dot4_i32_iu8 v12, v12, v13, v14 neg_lo:[1,1,0]
	flat_store_b32 v[8:9], v12 offset:40
	flat_load_b32 v12, v[4:5] offset:4
	flat_load_b32 v13, v[6:7] offset:12
	s_waitcnt vmcnt(0) lgkmcnt(0)
	v_dot4_i32_iu8 v12, v12, v13, v15 neg_lo:[1,1,0]
	flat_store_b32 v[8:9], v12 offset:44
	flat_load_b32 v28, v[4:5] offset:8
	flat_load_b32 v29, v[6:7]
	s_clause 0x1
	flat_load_b128 v[12:15], v[8:9] offset:64
	flat_load_b128 v[24:27], v[8:9] offset:80
	s_waitcnt vmcnt(1) lgkmcnt(1)
	v_dot4_i32_iu8 v12, v28, v29, v12 neg_lo:[1,1,0]
	flat_store_b32 v[8:9], v12 offset:64
	flat_load_b32 v12, v[4:5] offset:8
	flat_load_b32 v28, v[6:7] offset:4
	s_waitcnt vmcnt(0) lgkmcnt(0)
	v_dot4_i32_iu8 v12, v12, v28, v13 neg_lo:[1,1,0]
	flat_store_b32 v[8:9], v12 offset:68
	flat_load_b32 v12, v[4:5] offset:8
	flat_load_b32 v13, v[6:7] offset:8
	s_waitcnt vmcnt(0) lgkmcnt(0)
	v_dot4_i32_iu8 v12, v12, v13, v14 neg_lo:[1,1,0]
	flat_store_b32 v[8:9], v12 offset:72
	flat_load_b32 v12, v[4:5] offset:8
	flat_load_b32 v13, v[6:7] offset:12
	s_waitcnt vmcnt(0) lgkmcnt(0)
	v_dot4_i32_iu8 v12, v12, v13, v15 neg_lo:[1,1,0]
	flat_store_b32 v[8:9], v12 offset:76
	;; [unrolled: 23-line block ×3, first 2 shown]
	flat_load_b32 v12, v[4:5]
	flat_load_b32 v13, v[6:7] offset:16
	s_waitcnt vmcnt(0) lgkmcnt(0)
	v_dot4_i32_iu8 v12, v12, v13, v16 neg_lo:[1,1,0]
	flat_store_b32 v[8:9], v12 offset:16
	flat_load_b32 v12, v[4:5]
	flat_load_b32 v13, v[6:7] offset:20
	s_waitcnt vmcnt(0) lgkmcnt(0)
	v_dot4_i32_iu8 v12, v12, v13, v17 neg_lo:[1,1,0]
	flat_store_b32 v[8:9], v12 offset:20
	;; [unrolled: 5-line block ×4, first 2 shown]
	flat_load_b32 v12, v[4:5] offset:4
	flat_load_b32 v13, v[6:7] offset:16
	s_waitcnt vmcnt(0) lgkmcnt(0)
	v_dot4_i32_iu8 v12, v12, v13, v20 neg_lo:[1,1,0]
	flat_store_b32 v[8:9], v12 offset:48
	flat_load_b32 v12, v[4:5] offset:4
	flat_load_b32 v13, v[6:7] offset:20
	s_waitcnt vmcnt(0) lgkmcnt(0)
	v_dot4_i32_iu8 v12, v12, v13, v21 neg_lo:[1,1,0]
	flat_store_b32 v[8:9], v12 offset:52
	;; [unrolled: 5-line block ×12, first 2 shown]
	flat_load_b32 v14, v[0:1] offset:16
	flat_load_b64 v[12:13], v[2:3]
	s_waitcnt vmcnt(1) lgkmcnt(1)
	v_ashrrev_i32_e32 v15, 31, v14
	s_waitcnt vmcnt(0) lgkmcnt(0)
	v_add_co_u32 v12, vcc_lo, v12, v14
	s_delay_alu instid0(VALU_DEP_2)
	v_add_co_ci_u32_e32 v13, vcc_lo, v13, v15, vcc_lo
	flat_load_b128 v[12:15], v[12:13] offset:1536
	flat_load_b32 v20, v[4:5] offset:16
	s_waitcnt vmcnt(1) lgkmcnt(1)
	flat_store_b128 v[4:5], v[12:15]
	flat_load_b32 v21, v[6:7]
	s_clause 0x1
	flat_load_b128 v[12:15], v[8:9] offset:128
	flat_load_b128 v[16:19], v[8:9] offset:160
	s_waitcnt vmcnt(1) lgkmcnt(1)
	v_dot4_i32_iu8 v12, v20, v21, v12 neg_lo:[1,1,0]
	flat_store_b32 v[8:9], v12 offset:128
	flat_load_b32 v12, v[4:5] offset:16
	flat_load_b32 v20, v[6:7] offset:4
	s_waitcnt vmcnt(0) lgkmcnt(0)
	v_dot4_i32_iu8 v12, v12, v20, v13 neg_lo:[1,1,0]
	flat_store_b32 v[8:9], v12 offset:132
	flat_load_b32 v12, v[4:5] offset:16
	flat_load_b32 v13, v[6:7] offset:8
	;; [unrolled: 5-line block ×3, first 2 shown]
	s_waitcnt vmcnt(0) lgkmcnt(0)
	v_dot4_i32_iu8 v12, v12, v13, v15 neg_lo:[1,1,0]
	flat_store_b32 v[8:9], v12 offset:140
	flat_load_b32 v12, v[4:5] offset:20
	flat_load_b32 v13, v[6:7]
	s_waitcnt vmcnt(0) lgkmcnt(0)
	v_dot4_i32_iu8 v12, v12, v13, v16 neg_lo:[1,1,0]
	flat_store_b32 v[8:9], v12 offset:160
	flat_load_b32 v12, v[4:5] offset:20
	flat_load_b32 v13, v[6:7] offset:4
	s_waitcnt vmcnt(0) lgkmcnt(0)
	v_dot4_i32_iu8 v12, v12, v13, v17 neg_lo:[1,1,0]
	flat_store_b32 v[8:9], v12 offset:164
	flat_load_b32 v12, v[4:5] offset:20
	flat_load_b32 v13, v[6:7] offset:8
	;; [unrolled: 5-line block ×3, first 2 shown]
	s_waitcnt vmcnt(0) lgkmcnt(0)
	v_dot4_i32_iu8 v12, v12, v13, v19 neg_lo:[1,1,0]
	flat_store_b32 v[8:9], v12 offset:172
	flat_load_b32 v20, v[4:5] offset:24
	flat_load_b32 v21, v[6:7]
	s_clause 0x1
	flat_load_b128 v[12:15], v[8:9] offset:192
	flat_load_b128 v[16:19], v[8:9] offset:224
	s_waitcnt vmcnt(1) lgkmcnt(1)
	v_dot4_i32_iu8 v12, v20, v21, v12 neg_lo:[1,1,0]
	flat_store_b32 v[8:9], v12 offset:192
	flat_load_b32 v12, v[4:5] offset:24
	flat_load_b32 v20, v[6:7] offset:4
	s_waitcnt vmcnt(0) lgkmcnt(0)
	v_dot4_i32_iu8 v12, v12, v20, v13 neg_lo:[1,1,0]
	flat_store_b32 v[8:9], v12 offset:196
	flat_load_b32 v12, v[4:5] offset:24
	flat_load_b32 v13, v[6:7] offset:8
	;; [unrolled: 5-line block ×3, first 2 shown]
	s_waitcnt vmcnt(0) lgkmcnt(0)
	v_dot4_i32_iu8 v12, v12, v13, v15 neg_lo:[1,1,0]
	flat_store_b32 v[8:9], v12 offset:204
	flat_load_b32 v12, v[4:5] offset:28
	flat_load_b32 v13, v[6:7]
	s_waitcnt vmcnt(0) lgkmcnt(0)
	v_dot4_i32_iu8 v12, v12, v13, v16 neg_lo:[1,1,0]
	flat_store_b32 v[8:9], v12 offset:224
	flat_load_b32 v12, v[4:5] offset:28
	flat_load_b32 v13, v[6:7] offset:4
	s_waitcnt vmcnt(0) lgkmcnt(0)
	v_dot4_i32_iu8 v12, v12, v13, v17 neg_lo:[1,1,0]
	flat_store_b32 v[8:9], v12 offset:228
	flat_load_b32 v12, v[4:5] offset:28
	flat_load_b32 v13, v[6:7] offset:8
	;; [unrolled: 5-line block ×3, first 2 shown]
	s_waitcnt vmcnt(0) lgkmcnt(0)
	v_dot4_i32_iu8 v12, v12, v13, v19 neg_lo:[1,1,0]
	flat_store_b32 v[8:9], v12 offset:236
	flat_load_b32 v14, v[0:1] offset:48
	flat_load_b64 v[12:13], v[10:11]
	s_waitcnt vmcnt(1) lgkmcnt(1)
	v_ashrrev_i32_e32 v15, 31, v14
	s_waitcnt vmcnt(0) lgkmcnt(0)
	v_add_co_u32 v12, vcc_lo, v12, v14
	s_delay_alu instid0(VALU_DEP_2)
	v_add_co_ci_u32_e32 v13, vcc_lo, v13, v15, vcc_lo
	flat_load_b128 v[12:15], v[12:13] offset:1536
	flat_load_b32 v20, v[6:7] offset:16
	s_waitcnt vmcnt(1) lgkmcnt(1)
	flat_store_b128 v[6:7], v[12:15]
	flat_load_b32 v21, v[4:5] offset:16
	s_clause 0x1
	flat_load_b128 v[12:15], v[8:9] offset:144
	flat_load_b128 v[16:19], v[8:9] offset:176
	s_waitcnt vmcnt(1) lgkmcnt(1)
	v_dot4_i32_iu8 v12, v21, v20, v12 neg_lo:[1,1,0]
	flat_store_b32 v[8:9], v12 offset:144
	flat_load_b32 v12, v[4:5] offset:16
	flat_load_b32 v20, v[6:7] offset:20
	s_waitcnt vmcnt(0) lgkmcnt(0)
	v_dot4_i32_iu8 v12, v12, v20, v13 neg_lo:[1,1,0]
	flat_store_b32 v[8:9], v12 offset:148
	flat_load_b32 v12, v[4:5] offset:16
	flat_load_b32 v13, v[6:7] offset:24
	;; [unrolled: 5-line block ×8, first 2 shown]
	s_clause 0x1
	flat_load_b128 v[12:15], v[8:9] offset:208
	flat_load_b128 v[16:19], v[8:9] offset:240
	s_waitcnt vmcnt(1) lgkmcnt(1)
	v_dot4_i32_iu8 v12, v20, v21, v12 neg_lo:[1,1,0]
	flat_store_b32 v[8:9], v12 offset:208
	flat_load_b32 v12, v[4:5] offset:24
	flat_load_b32 v20, v[6:7] offset:20
	s_waitcnt vmcnt(0) lgkmcnt(0)
	v_dot4_i32_iu8 v12, v12, v20, v13 neg_lo:[1,1,0]
	flat_store_b32 v[8:9], v12 offset:212
	flat_load_b32 v12, v[4:5] offset:24
	flat_load_b32 v13, v[6:7] offset:24
	;; [unrolled: 5-line block ×7, first 2 shown]
	s_waitcnt vmcnt(0) lgkmcnt(0)
	v_dot4_i32_iu8 v12, v12, v13, v19 neg_lo:[1,1,0]
	flat_store_b32 v[8:9], v12 offset:252
	flat_load_b32 v14, v[0:1] offset:48
	flat_load_b64 v[12:13], v[10:11]
	s_waitcnt vmcnt(1) lgkmcnt(1)
	v_ashrrev_i32_e32 v15, 31, v14
	s_waitcnt vmcnt(0) lgkmcnt(0)
	v_add_co_u32 v12, vcc_lo, v12, v14
	s_delay_alu instid0(VALU_DEP_2)
	v_add_co_ci_u32_e32 v13, vcc_lo, v13, v15, vcc_lo
	flat_load_b128 v[12:15], v[12:13] offset:1792
	s_waitcnt vmcnt(0) lgkmcnt(0)
	flat_store_b128 v[6:7], v[12:15] offset:16
	flat_load_b32 v14, v[0:1] offset:16
	flat_load_b64 v[12:13], v[2:3]
	s_waitcnt vmcnt(1) lgkmcnt(1)
	v_ashrrev_i32_e32 v15, 31, v14
	s_waitcnt vmcnt(0) lgkmcnt(0)
	v_add_co_u32 v12, vcc_lo, v12, v14
	s_delay_alu instid0(VALU_DEP_2)
	v_add_co_ci_u32_e32 v13, vcc_lo, v13, v15, vcc_lo
	flat_load_b128 v[12:15], v[12:13] offset:1792
	flat_load_b32 v20, v[4:5]
	s_waitcnt vmcnt(1) lgkmcnt(1)
	flat_store_b128 v[4:5], v[12:15] offset:16
	flat_load_b32 v21, v[6:7]
	s_clause 0x1
	flat_load_b128 v[12:15], v[8:9]
	flat_load_b128 v[16:19], v[8:9] offset:16
	s_waitcnt vmcnt(1) lgkmcnt(1)
	v_dot4_i32_iu8 v12, v20, v21, v12 neg_lo:[1,1,0]
	flat_store_b32 v[8:9], v12
	flat_load_b32 v12, v[4:5]
	flat_load_b32 v20, v[6:7] offset:4
	s_waitcnt vmcnt(0) lgkmcnt(0)
	v_dot4_i32_iu8 v12, v12, v20, v13 neg_lo:[1,1,0]
	flat_store_b32 v[8:9], v12 offset:4
	flat_load_b32 v12, v[4:5]
	flat_load_b32 v13, v[6:7] offset:8
	s_waitcnt vmcnt(0) lgkmcnt(0)
	v_dot4_i32_iu8 v12, v12, v13, v14 neg_lo:[1,1,0]
	flat_store_b32 v[8:9], v12 offset:8
	flat_load_b32 v12, v[4:5]
	flat_load_b32 v13, v[6:7] offset:12
	s_waitcnt vmcnt(0) lgkmcnt(0)
	v_dot4_i32_iu8 v12, v12, v13, v15 neg_lo:[1,1,0]
	flat_store_b32 v[8:9], v12 offset:12
	flat_load_b32 v24, v[4:5] offset:4
	flat_load_b32 v25, v[6:7]
	s_clause 0x1
	flat_load_b128 v[12:15], v[8:9] offset:32
	flat_load_b128 v[20:23], v[8:9] offset:48
	s_waitcnt vmcnt(1) lgkmcnt(1)
	v_dot4_i32_iu8 v12, v24, v25, v12 neg_lo:[1,1,0]
	flat_store_b32 v[8:9], v12 offset:32
	flat_load_b32 v12, v[4:5] offset:4
	flat_load_b32 v24, v[6:7] offset:4
	s_waitcnt vmcnt(0) lgkmcnt(0)
	v_dot4_i32_iu8 v12, v12, v24, v13 neg_lo:[1,1,0]
	flat_store_b32 v[8:9], v12 offset:36
	flat_load_b32 v12, v[4:5] offset:4
	flat_load_b32 v13, v[6:7] offset:8
	s_waitcnt vmcnt(0) lgkmcnt(0)
	v_dot4_i32_iu8 v12, v12, v13, v14 neg_lo:[1,1,0]
	flat_store_b32 v[8:9], v12 offset:40
	flat_load_b32 v12, v[4:5] offset:4
	flat_load_b32 v13, v[6:7] offset:12
	s_waitcnt vmcnt(0) lgkmcnt(0)
	v_dot4_i32_iu8 v12, v12, v13, v15 neg_lo:[1,1,0]
	flat_store_b32 v[8:9], v12 offset:44
	flat_load_b32 v28, v[4:5] offset:8
	flat_load_b32 v29, v[6:7]
	s_clause 0x1
	flat_load_b128 v[12:15], v[8:9] offset:64
	flat_load_b128 v[24:27], v[8:9] offset:80
	s_waitcnt vmcnt(1) lgkmcnt(1)
	v_dot4_i32_iu8 v12, v28, v29, v12 neg_lo:[1,1,0]
	flat_store_b32 v[8:9], v12 offset:64
	flat_load_b32 v12, v[4:5] offset:8
	flat_load_b32 v28, v[6:7] offset:4
	s_waitcnt vmcnt(0) lgkmcnt(0)
	v_dot4_i32_iu8 v12, v12, v28, v13 neg_lo:[1,1,0]
	flat_store_b32 v[8:9], v12 offset:68
	flat_load_b32 v12, v[4:5] offset:8
	flat_load_b32 v13, v[6:7] offset:8
	s_waitcnt vmcnt(0) lgkmcnt(0)
	v_dot4_i32_iu8 v12, v12, v13, v14 neg_lo:[1,1,0]
	flat_store_b32 v[8:9], v12 offset:72
	flat_load_b32 v12, v[4:5] offset:8
	flat_load_b32 v13, v[6:7] offset:12
	s_waitcnt vmcnt(0) lgkmcnt(0)
	v_dot4_i32_iu8 v12, v12, v13, v15 neg_lo:[1,1,0]
	flat_store_b32 v[8:9], v12 offset:76
	;; [unrolled: 23-line block ×3, first 2 shown]
	flat_load_b32 v12, v[4:5]
	flat_load_b32 v13, v[6:7] offset:16
	s_waitcnt vmcnt(0) lgkmcnt(0)
	v_dot4_i32_iu8 v12, v12, v13, v16 neg_lo:[1,1,0]
	flat_store_b32 v[8:9], v12 offset:16
	flat_load_b32 v12, v[4:5]
	flat_load_b32 v13, v[6:7] offset:20
	s_waitcnt vmcnt(0) lgkmcnt(0)
	v_dot4_i32_iu8 v12, v12, v13, v17 neg_lo:[1,1,0]
	flat_store_b32 v[8:9], v12 offset:20
	;; [unrolled: 5-line block ×4, first 2 shown]
	flat_load_b32 v12, v[4:5] offset:4
	flat_load_b32 v13, v[6:7] offset:16
	s_waitcnt vmcnt(0) lgkmcnt(0)
	v_dot4_i32_iu8 v12, v12, v13, v20 neg_lo:[1,1,0]
	flat_store_b32 v[8:9], v12 offset:48
	flat_load_b32 v12, v[4:5] offset:4
	flat_load_b32 v13, v[6:7] offset:20
	s_waitcnt vmcnt(0) lgkmcnt(0)
	v_dot4_i32_iu8 v12, v12, v13, v21 neg_lo:[1,1,0]
	flat_store_b32 v[8:9], v12 offset:52
	;; [unrolled: 5-line block ×12, first 2 shown]
	flat_load_b32 v14, v[0:1] offset:16
	flat_load_b64 v[12:13], v[2:3]
	s_waitcnt vmcnt(1) lgkmcnt(1)
	v_ashrrev_i32_e32 v15, 31, v14
	s_waitcnt vmcnt(0) lgkmcnt(0)
	v_add_co_u32 v12, vcc_lo, v12, v14
	s_delay_alu instid0(VALU_DEP_2)
	v_add_co_ci_u32_e32 v13, vcc_lo, v13, v15, vcc_lo
	flat_load_b128 v[12:15], v[12:13] offset:2048
	flat_load_b32 v20, v[4:5] offset:16
	s_waitcnt vmcnt(1) lgkmcnt(1)
	flat_store_b128 v[4:5], v[12:15]
	flat_load_b32 v21, v[6:7]
	s_clause 0x1
	flat_load_b128 v[12:15], v[8:9] offset:128
	flat_load_b128 v[16:19], v[8:9] offset:160
	s_waitcnt vmcnt(1) lgkmcnt(1)
	v_dot4_i32_iu8 v12, v20, v21, v12 neg_lo:[1,1,0]
	flat_store_b32 v[8:9], v12 offset:128
	flat_load_b32 v12, v[4:5] offset:16
	flat_load_b32 v20, v[6:7] offset:4
	s_waitcnt vmcnt(0) lgkmcnt(0)
	v_dot4_i32_iu8 v12, v12, v20, v13 neg_lo:[1,1,0]
	flat_store_b32 v[8:9], v12 offset:132
	flat_load_b32 v12, v[4:5] offset:16
	flat_load_b32 v13, v[6:7] offset:8
	;; [unrolled: 5-line block ×3, first 2 shown]
	s_waitcnt vmcnt(0) lgkmcnt(0)
	v_dot4_i32_iu8 v12, v12, v13, v15 neg_lo:[1,1,0]
	flat_store_b32 v[8:9], v12 offset:140
	flat_load_b32 v12, v[4:5] offset:20
	flat_load_b32 v13, v[6:7]
	s_waitcnt vmcnt(0) lgkmcnt(0)
	v_dot4_i32_iu8 v12, v12, v13, v16 neg_lo:[1,1,0]
	flat_store_b32 v[8:9], v12 offset:160
	flat_load_b32 v12, v[4:5] offset:20
	flat_load_b32 v13, v[6:7] offset:4
	s_waitcnt vmcnt(0) lgkmcnt(0)
	v_dot4_i32_iu8 v12, v12, v13, v17 neg_lo:[1,1,0]
	flat_store_b32 v[8:9], v12 offset:164
	flat_load_b32 v12, v[4:5] offset:20
	flat_load_b32 v13, v[6:7] offset:8
	;; [unrolled: 5-line block ×3, first 2 shown]
	s_waitcnt vmcnt(0) lgkmcnt(0)
	v_dot4_i32_iu8 v12, v12, v13, v19 neg_lo:[1,1,0]
	flat_store_b32 v[8:9], v12 offset:172
	flat_load_b32 v20, v[4:5] offset:24
	flat_load_b32 v21, v[6:7]
	s_clause 0x1
	flat_load_b128 v[12:15], v[8:9] offset:192
	flat_load_b128 v[16:19], v[8:9] offset:224
	s_waitcnt vmcnt(1) lgkmcnt(1)
	v_dot4_i32_iu8 v12, v20, v21, v12 neg_lo:[1,1,0]
	flat_store_b32 v[8:9], v12 offset:192
	flat_load_b32 v12, v[4:5] offset:24
	flat_load_b32 v20, v[6:7] offset:4
	s_waitcnt vmcnt(0) lgkmcnt(0)
	v_dot4_i32_iu8 v12, v12, v20, v13 neg_lo:[1,1,0]
	flat_store_b32 v[8:9], v12 offset:196
	flat_load_b32 v12, v[4:5] offset:24
	flat_load_b32 v13, v[6:7] offset:8
	;; [unrolled: 5-line block ×3, first 2 shown]
	s_waitcnt vmcnt(0) lgkmcnt(0)
	v_dot4_i32_iu8 v12, v12, v13, v15 neg_lo:[1,1,0]
	flat_store_b32 v[8:9], v12 offset:204
	flat_load_b32 v12, v[4:5] offset:28
	flat_load_b32 v13, v[6:7]
	s_waitcnt vmcnt(0) lgkmcnt(0)
	v_dot4_i32_iu8 v12, v12, v13, v16 neg_lo:[1,1,0]
	flat_store_b32 v[8:9], v12 offset:224
	flat_load_b32 v12, v[4:5] offset:28
	flat_load_b32 v13, v[6:7] offset:4
	s_waitcnt vmcnt(0) lgkmcnt(0)
	v_dot4_i32_iu8 v12, v12, v13, v17 neg_lo:[1,1,0]
	flat_store_b32 v[8:9], v12 offset:228
	flat_load_b32 v12, v[4:5] offset:28
	flat_load_b32 v13, v[6:7] offset:8
	;; [unrolled: 5-line block ×3, first 2 shown]
	s_waitcnt vmcnt(0) lgkmcnt(0)
	v_dot4_i32_iu8 v12, v12, v13, v19 neg_lo:[1,1,0]
	flat_store_b32 v[8:9], v12 offset:236
	flat_load_b32 v14, v[0:1] offset:48
	flat_load_b64 v[12:13], v[10:11]
	s_waitcnt vmcnt(1) lgkmcnt(1)
	v_ashrrev_i32_e32 v15, 31, v14
	s_waitcnt vmcnt(0) lgkmcnt(0)
	v_add_co_u32 v12, vcc_lo, v12, v14
	s_delay_alu instid0(VALU_DEP_2)
	v_add_co_ci_u32_e32 v13, vcc_lo, v13, v15, vcc_lo
	flat_load_b128 v[12:15], v[12:13] offset:2048
	flat_load_b32 v20, v[6:7] offset:16
	s_waitcnt vmcnt(1) lgkmcnt(1)
	flat_store_b128 v[6:7], v[12:15]
	flat_load_b32 v21, v[4:5] offset:16
	s_clause 0x1
	flat_load_b128 v[12:15], v[8:9] offset:144
	flat_load_b128 v[16:19], v[8:9] offset:176
	s_waitcnt vmcnt(1) lgkmcnt(1)
	v_dot4_i32_iu8 v12, v21, v20, v12 neg_lo:[1,1,0]
	flat_store_b32 v[8:9], v12 offset:144
	flat_load_b32 v12, v[4:5] offset:16
	flat_load_b32 v20, v[6:7] offset:20
	s_waitcnt vmcnt(0) lgkmcnt(0)
	v_dot4_i32_iu8 v12, v12, v20, v13 neg_lo:[1,1,0]
	flat_store_b32 v[8:9], v12 offset:148
	flat_load_b32 v12, v[4:5] offset:16
	flat_load_b32 v13, v[6:7] offset:24
	;; [unrolled: 5-line block ×8, first 2 shown]
	s_clause 0x1
	flat_load_b128 v[12:15], v[8:9] offset:208
	flat_load_b128 v[16:19], v[8:9] offset:240
	s_waitcnt vmcnt(1) lgkmcnt(1)
	v_dot4_i32_iu8 v12, v20, v21, v12 neg_lo:[1,1,0]
	flat_store_b32 v[8:9], v12 offset:208
	flat_load_b32 v12, v[4:5] offset:24
	flat_load_b32 v20, v[6:7] offset:20
	s_waitcnt vmcnt(0) lgkmcnt(0)
	v_dot4_i32_iu8 v12, v12, v20, v13 neg_lo:[1,1,0]
	flat_store_b32 v[8:9], v12 offset:212
	flat_load_b32 v12, v[4:5] offset:24
	flat_load_b32 v13, v[6:7] offset:24
	;; [unrolled: 5-line block ×7, first 2 shown]
	s_waitcnt vmcnt(0) lgkmcnt(0)
	v_dot4_i32_iu8 v12, v12, v13, v19 neg_lo:[1,1,0]
	flat_store_b32 v[8:9], v12 offset:252
	flat_load_b32 v14, v[0:1] offset:48
	flat_load_b64 v[12:13], v[10:11]
	s_waitcnt vmcnt(1) lgkmcnt(1)
	v_ashrrev_i32_e32 v15, 31, v14
	s_waitcnt vmcnt(0) lgkmcnt(0)
	v_add_co_u32 v12, vcc_lo, v12, v14
	s_delay_alu instid0(VALU_DEP_2)
	v_add_co_ci_u32_e32 v13, vcc_lo, v13, v15, vcc_lo
	flat_load_b128 v[12:15], v[12:13] offset:2304
	s_waitcnt vmcnt(0) lgkmcnt(0)
	flat_store_b128 v[6:7], v[12:15] offset:16
	flat_load_b32 v14, v[0:1] offset:16
	flat_load_b64 v[12:13], v[2:3]
	s_waitcnt vmcnt(1) lgkmcnt(1)
	v_ashrrev_i32_e32 v15, 31, v14
	s_waitcnt vmcnt(0) lgkmcnt(0)
	v_add_co_u32 v12, vcc_lo, v12, v14
	s_delay_alu instid0(VALU_DEP_2)
	v_add_co_ci_u32_e32 v13, vcc_lo, v13, v15, vcc_lo
	flat_load_b128 v[12:15], v[12:13] offset:2304
	flat_load_b32 v20, v[4:5]
	s_waitcnt vmcnt(1) lgkmcnt(1)
	flat_store_b128 v[4:5], v[12:15] offset:16
	flat_load_b32 v21, v[6:7]
	s_clause 0x1
	flat_load_b128 v[12:15], v[8:9]
	flat_load_b128 v[16:19], v[8:9] offset:16
	s_waitcnt vmcnt(1) lgkmcnt(1)
	v_dot4_i32_iu8 v12, v20, v21, v12 neg_lo:[1,1,0]
	flat_store_b32 v[8:9], v12
	flat_load_b32 v12, v[4:5]
	flat_load_b32 v20, v[6:7] offset:4
	s_waitcnt vmcnt(0) lgkmcnt(0)
	v_dot4_i32_iu8 v12, v12, v20, v13 neg_lo:[1,1,0]
	flat_store_b32 v[8:9], v12 offset:4
	flat_load_b32 v12, v[4:5]
	flat_load_b32 v13, v[6:7] offset:8
	s_waitcnt vmcnt(0) lgkmcnt(0)
	v_dot4_i32_iu8 v12, v12, v13, v14 neg_lo:[1,1,0]
	flat_store_b32 v[8:9], v12 offset:8
	;; [unrolled: 5-line block ×3, first 2 shown]
	flat_load_b32 v24, v[4:5] offset:4
	flat_load_b32 v25, v[6:7]
	s_clause 0x1
	flat_load_b128 v[12:15], v[8:9] offset:32
	flat_load_b128 v[20:23], v[8:9] offset:48
	s_waitcnt vmcnt(1) lgkmcnt(1)
	v_dot4_i32_iu8 v12, v24, v25, v12 neg_lo:[1,1,0]
	flat_store_b32 v[8:9], v12 offset:32
	flat_load_b32 v12, v[4:5] offset:4
	flat_load_b32 v24, v[6:7] offset:4
	s_waitcnt vmcnt(0) lgkmcnt(0)
	v_dot4_i32_iu8 v12, v12, v24, v13 neg_lo:[1,1,0]
	flat_store_b32 v[8:9], v12 offset:36
	flat_load_b32 v12, v[4:5] offset:4
	flat_load_b32 v13, v[6:7] offset:8
	;; [unrolled: 5-line block ×3, first 2 shown]
	s_waitcnt vmcnt(0) lgkmcnt(0)
	v_dot4_i32_iu8 v24, v12, v13, v15 neg_lo:[1,1,0]
	flat_load_b128 v[12:15], v[8:9] offset:64
	flat_store_b32 v[8:9], v24 offset:44
	flat_load_b32 v24, v[4:5] offset:8
	flat_load_b32 v25, v[6:7]
	s_waitcnt vmcnt(0) lgkmcnt(0)
	v_dot4_i32_iu8 v12, v24, v25, v12 neg_lo:[1,1,0]
	flat_store_b32 v[8:9], v12 offset:64
	flat_load_b32 v12, v[4:5] offset:8
	flat_load_b32 v24, v[6:7] offset:4
	s_waitcnt vmcnt(0) lgkmcnt(0)
	v_dot4_i32_iu8 v12, v12, v24, v13 neg_lo:[1,1,0]
	flat_store_b32 v[8:9], v12 offset:68
	flat_load_b32 v12, v[4:5] offset:8
	flat_load_b32 v13, v[6:7] offset:8
	;; [unrolled: 5-line block ×3, first 2 shown]
	s_waitcnt vmcnt(0) lgkmcnt(0)
	v_dot4_i32_iu8 v24, v12, v13, v15 neg_lo:[1,1,0]
	flat_load_b128 v[12:15], v[8:9] offset:96
	flat_store_b32 v[8:9], v24 offset:76
	flat_load_b32 v24, v[4:5] offset:12
	flat_load_b32 v25, v[6:7]
	s_waitcnt vmcnt(0) lgkmcnt(0)
	v_dot4_i32_iu8 v12, v24, v25, v12 neg_lo:[1,1,0]
	flat_store_b32 v[8:9], v12 offset:96
	flat_load_b32 v12, v[4:5] offset:12
	flat_load_b32 v24, v[6:7] offset:4
	s_waitcnt vmcnt(0) lgkmcnt(0)
	v_dot4_i32_iu8 v12, v12, v24, v13 neg_lo:[1,1,0]
	flat_store_b32 v[8:9], v12 offset:100
	flat_load_b32 v12, v[4:5] offset:12
	flat_load_b32 v13, v[6:7] offset:8
	s_waitcnt vmcnt(0) lgkmcnt(0)
	v_dot4_i32_iu8 v12, v12, v13, v14 neg_lo:[1,1,0]
	flat_store_b32 v[8:9], v12 offset:104
	flat_load_b32 v12, v[4:5] offset:12
	flat_load_b32 v13, v[6:7] offset:12
	s_waitcnt vmcnt(0) lgkmcnt(0)
	v_dot4_i32_iu8 v12, v12, v13, v15 neg_lo:[1,1,0]
	flat_store_b32 v[8:9], v12 offset:108
	flat_load_b32 v12, v[4:5]
	flat_load_b32 v13, v[6:7] offset:16
	s_waitcnt vmcnt(0) lgkmcnt(0)
	v_dot4_i32_iu8 v12, v12, v13, v16 neg_lo:[1,1,0]
	flat_store_b32 v[8:9], v12 offset:16
	flat_load_b32 v12, v[4:5]
	flat_load_b32 v13, v[6:7] offset:20
	;; [unrolled: 5-line block ×4, first 2 shown]
	s_waitcnt vmcnt(0) lgkmcnt(0)
	v_dot4_i32_iu8 v12, v12, v13, v19 neg_lo:[1,1,0]
	flat_store_b32 v[8:9], v12 offset:28
	flat_load_b32 v12, v[4:5] offset:4
	flat_load_b32 v13, v[6:7] offset:16
	s_waitcnt vmcnt(0) lgkmcnt(0)
	v_dot4_i32_iu8 v12, v12, v13, v20 neg_lo:[1,1,0]
	flat_store_b32 v[8:9], v12 offset:48
	flat_load_b32 v12, v[4:5] offset:4
	flat_load_b32 v13, v[6:7] offset:20
	;; [unrolled: 5-line block ×4, first 2 shown]
	s_waitcnt vmcnt(0) lgkmcnt(0)
	v_dot4_i32_iu8 v16, v12, v13, v23 neg_lo:[1,1,0]
	flat_load_b128 v[12:15], v[8:9] offset:80
	flat_store_b32 v[8:9], v16 offset:60
	flat_load_b32 v16, v[4:5] offset:8
	flat_load_b32 v17, v[6:7] offset:16
	s_waitcnt vmcnt(0) lgkmcnt(0)
	v_dot4_i32_iu8 v12, v16, v17, v12 neg_lo:[1,1,0]
	flat_store_b32 v[8:9], v12 offset:80
	flat_load_b32 v12, v[4:5] offset:8
	flat_load_b32 v16, v[6:7] offset:20
	s_waitcnt vmcnt(0) lgkmcnt(0)
	v_dot4_i32_iu8 v12, v12, v16, v13 neg_lo:[1,1,0]
	;; [unrolled: 5-line block ×4, first 2 shown]
	flat_load_b128 v[12:15], v[8:9] offset:112
	flat_store_b32 v[8:9], v16 offset:92
	flat_load_b32 v16, v[4:5] offset:12
	flat_load_b32 v17, v[6:7] offset:16
	s_waitcnt vmcnt(0) lgkmcnt(0)
	v_dot4_i32_iu8 v12, v16, v17, v12 neg_lo:[1,1,0]
	flat_store_b32 v[8:9], v12 offset:112
	flat_load_b32 v12, v[4:5] offset:12
	flat_load_b32 v16, v[6:7] offset:20
	s_waitcnt vmcnt(0) lgkmcnt(0)
	v_dot4_i32_iu8 v12, v12, v16, v13 neg_lo:[1,1,0]
	;; [unrolled: 5-line block ×4, first 2 shown]
	flat_store_b32 v[8:9], v12 offset:124
	flat_load_b32 v14, v[0:1] offset:16
	flat_load_b64 v[12:13], v[2:3]
	s_waitcnt vmcnt(1) lgkmcnt(1)
	v_ashrrev_i32_e32 v15, 31, v14
	s_waitcnt vmcnt(0) lgkmcnt(0)
	v_add_co_u32 v12, vcc_lo, v12, v14
	s_delay_alu instid0(VALU_DEP_2)
	v_add_co_ci_u32_e32 v13, vcc_lo, v13, v15, vcc_lo
	flat_load_b128 v[12:15], v[12:13] offset:2560
	flat_load_b32 v20, v[4:5] offset:16
	s_waitcnt vmcnt(1) lgkmcnt(1)
	flat_store_b128 v[4:5], v[12:15]
	flat_load_b32 v21, v[6:7]
	s_clause 0x1
	flat_load_b128 v[12:15], v[8:9] offset:128
	flat_load_b128 v[16:19], v[8:9] offset:160
	s_waitcnt vmcnt(1) lgkmcnt(1)
	v_dot4_i32_iu8 v12, v20, v21, v12 neg_lo:[1,1,0]
	flat_store_b32 v[8:9], v12 offset:128
	flat_load_b32 v12, v[4:5] offset:16
	flat_load_b32 v20, v[6:7] offset:4
	s_waitcnt vmcnt(0) lgkmcnt(0)
	v_dot4_i32_iu8 v12, v12, v20, v13 neg_lo:[1,1,0]
	flat_store_b32 v[8:9], v12 offset:132
	flat_load_b32 v12, v[4:5] offset:16
	flat_load_b32 v13, v[6:7] offset:8
	;; [unrolled: 5-line block ×3, first 2 shown]
	s_waitcnt vmcnt(0) lgkmcnt(0)
	v_dot4_i32_iu8 v12, v12, v13, v15 neg_lo:[1,1,0]
	flat_store_b32 v[8:9], v12 offset:140
	flat_load_b32 v12, v[4:5] offset:20
	flat_load_b32 v13, v[6:7]
	s_waitcnt vmcnt(0) lgkmcnt(0)
	v_dot4_i32_iu8 v12, v12, v13, v16 neg_lo:[1,1,0]
	flat_store_b32 v[8:9], v12 offset:160
	flat_load_b32 v12, v[4:5] offset:20
	flat_load_b32 v13, v[6:7] offset:4
	s_waitcnt vmcnt(0) lgkmcnt(0)
	v_dot4_i32_iu8 v12, v12, v13, v17 neg_lo:[1,1,0]
	flat_store_b32 v[8:9], v12 offset:164
	flat_load_b32 v12, v[4:5] offset:20
	flat_load_b32 v13, v[6:7] offset:8
	;; [unrolled: 5-line block ×3, first 2 shown]
	s_waitcnt vmcnt(0) lgkmcnt(0)
	v_dot4_i32_iu8 v12, v12, v13, v19 neg_lo:[1,1,0]
	flat_store_b32 v[8:9], v12 offset:172
	flat_load_b32 v20, v[4:5] offset:24
	flat_load_b32 v21, v[6:7]
	s_clause 0x1
	flat_load_b128 v[12:15], v[8:9] offset:192
	flat_load_b128 v[16:19], v[8:9] offset:224
	s_waitcnt vmcnt(1) lgkmcnt(1)
	v_dot4_i32_iu8 v12, v20, v21, v12 neg_lo:[1,1,0]
	flat_store_b32 v[8:9], v12 offset:192
	flat_load_b32 v12, v[4:5] offset:24
	flat_load_b32 v20, v[6:7] offset:4
	s_waitcnt vmcnt(0) lgkmcnt(0)
	v_dot4_i32_iu8 v12, v12, v20, v13 neg_lo:[1,1,0]
	flat_store_b32 v[8:9], v12 offset:196
	flat_load_b32 v12, v[4:5] offset:24
	flat_load_b32 v13, v[6:7] offset:8
	;; [unrolled: 5-line block ×3, first 2 shown]
	s_waitcnt vmcnt(0) lgkmcnt(0)
	v_dot4_i32_iu8 v12, v12, v13, v15 neg_lo:[1,1,0]
	flat_store_b32 v[8:9], v12 offset:204
	flat_load_b32 v12, v[4:5] offset:28
	flat_load_b32 v13, v[6:7]
	s_waitcnt vmcnt(0) lgkmcnt(0)
	v_dot4_i32_iu8 v12, v12, v13, v16 neg_lo:[1,1,0]
	flat_store_b32 v[8:9], v12 offset:224
	flat_load_b32 v12, v[4:5] offset:28
	flat_load_b32 v13, v[6:7] offset:4
	s_waitcnt vmcnt(0) lgkmcnt(0)
	v_dot4_i32_iu8 v12, v12, v13, v17 neg_lo:[1,1,0]
	flat_store_b32 v[8:9], v12 offset:228
	flat_load_b32 v12, v[4:5] offset:28
	flat_load_b32 v13, v[6:7] offset:8
	;; [unrolled: 5-line block ×3, first 2 shown]
	s_waitcnt vmcnt(0) lgkmcnt(0)
	v_dot4_i32_iu8 v12, v12, v13, v19 neg_lo:[1,1,0]
	flat_store_b32 v[8:9], v12 offset:236
	flat_load_b32 v14, v[0:1] offset:48
	flat_load_b64 v[12:13], v[10:11]
	s_waitcnt vmcnt(1) lgkmcnt(1)
	v_ashrrev_i32_e32 v15, 31, v14
	s_waitcnt vmcnt(0) lgkmcnt(0)
	v_add_co_u32 v12, vcc_lo, v12, v14
	s_delay_alu instid0(VALU_DEP_2)
	v_add_co_ci_u32_e32 v13, vcc_lo, v13, v15, vcc_lo
	flat_load_b128 v[12:15], v[12:13] offset:2560
	flat_load_b32 v20, v[6:7] offset:16
	s_waitcnt vmcnt(1) lgkmcnt(1)
	flat_store_b128 v[6:7], v[12:15]
	flat_load_b32 v21, v[4:5] offset:16
	s_clause 0x1
	flat_load_b128 v[12:15], v[8:9] offset:144
	flat_load_b128 v[16:19], v[8:9] offset:176
	s_waitcnt vmcnt(1) lgkmcnt(1)
	v_dot4_i32_iu8 v12, v21, v20, v12 neg_lo:[1,1,0]
	flat_store_b32 v[8:9], v12 offset:144
	flat_load_b32 v12, v[4:5] offset:16
	flat_load_b32 v20, v[6:7] offset:20
	s_waitcnt vmcnt(0) lgkmcnt(0)
	v_dot4_i32_iu8 v12, v12, v20, v13 neg_lo:[1,1,0]
	flat_store_b32 v[8:9], v12 offset:148
	flat_load_b32 v12, v[4:5] offset:16
	flat_load_b32 v13, v[6:7] offset:24
	;; [unrolled: 5-line block ×8, first 2 shown]
	s_clause 0x1
	flat_load_b128 v[12:15], v[8:9] offset:208
	flat_load_b128 v[16:19], v[8:9] offset:240
	s_waitcnt vmcnt(1) lgkmcnt(1)
	v_dot4_i32_iu8 v12, v20, v21, v12 neg_lo:[1,1,0]
	flat_store_b32 v[8:9], v12 offset:208
	flat_load_b32 v12, v[4:5] offset:24
	flat_load_b32 v20, v[6:7] offset:20
	s_waitcnt vmcnt(0) lgkmcnt(0)
	v_dot4_i32_iu8 v12, v12, v20, v13 neg_lo:[1,1,0]
	flat_store_b32 v[8:9], v12 offset:212
	flat_load_b32 v12, v[4:5] offset:24
	flat_load_b32 v13, v[6:7] offset:24
	s_waitcnt vmcnt(0) lgkmcnt(0)
	v_dot4_i32_iu8 v12, v12, v13, v14 neg_lo:[1,1,0]
	flat_store_b32 v[8:9], v12 offset:216
	flat_load_b32 v12, v[4:5] offset:24
	flat_load_b32 v13, v[6:7] offset:28
	s_waitcnt vmcnt(0) lgkmcnt(0)
	v_dot4_i32_iu8 v12, v12, v13, v15 neg_lo:[1,1,0]
	flat_store_b32 v[8:9], v12 offset:220
	flat_load_b32 v12, v[4:5] offset:28
	flat_load_b32 v13, v[6:7] offset:16
	s_waitcnt vmcnt(0) lgkmcnt(0)
	v_dot4_i32_iu8 v12, v12, v13, v16 neg_lo:[1,1,0]
	flat_store_b32 v[8:9], v12 offset:240
	flat_load_b32 v12, v[4:5] offset:28
	flat_load_b32 v13, v[6:7] offset:20
	s_waitcnt vmcnt(0) lgkmcnt(0)
	v_dot4_i32_iu8 v12, v12, v13, v17 neg_lo:[1,1,0]
	flat_store_b32 v[8:9], v12 offset:244
	flat_load_b32 v12, v[4:5] offset:28
	flat_load_b32 v13, v[6:7] offset:24
	s_waitcnt vmcnt(0) lgkmcnt(0)
	v_dot4_i32_iu8 v12, v12, v13, v18 neg_lo:[1,1,0]
	flat_store_b32 v[8:9], v12 offset:248
	flat_load_b32 v12, v[4:5] offset:28
	flat_load_b32 v13, v[6:7] offset:28
	s_waitcnt vmcnt(0) lgkmcnt(0)
	v_dot4_i32_iu8 v12, v12, v13, v19 neg_lo:[1,1,0]
	flat_store_b32 v[8:9], v12 offset:252
	flat_load_b32 v14, v[0:1] offset:48
	flat_load_b64 v[12:13], v[10:11]
	s_waitcnt vmcnt(1) lgkmcnt(1)
	v_ashrrev_i32_e32 v15, 31, v14
	s_waitcnt vmcnt(0) lgkmcnt(0)
	v_add_co_u32 v12, vcc_lo, v12, v14
	s_delay_alu instid0(VALU_DEP_2)
	v_add_co_ci_u32_e32 v13, vcc_lo, v13, v15, vcc_lo
	flat_load_b128 v[12:15], v[12:13] offset:2816
	s_waitcnt vmcnt(0) lgkmcnt(0)
	flat_store_b128 v[6:7], v[12:15] offset:16
	flat_load_b32 v14, v[0:1] offset:16
	flat_load_b64 v[12:13], v[2:3]
	s_waitcnt vmcnt(1) lgkmcnt(1)
	v_ashrrev_i32_e32 v15, 31, v14
	s_waitcnt vmcnt(0) lgkmcnt(0)
	v_add_co_u32 v12, vcc_lo, v12, v14
	s_delay_alu instid0(VALU_DEP_2)
	v_add_co_ci_u32_e32 v13, vcc_lo, v13, v15, vcc_lo
	flat_load_b128 v[12:15], v[12:13] offset:2816
	flat_load_b32 v20, v[4:5]
	s_waitcnt vmcnt(1) lgkmcnt(1)
	flat_store_b128 v[4:5], v[12:15] offset:16
	flat_load_b32 v21, v[6:7]
	s_clause 0x1
	flat_load_b128 v[12:15], v[8:9]
	flat_load_b128 v[16:19], v[8:9] offset:16
	s_waitcnt vmcnt(1) lgkmcnt(1)
	v_dot4_i32_iu8 v12, v20, v21, v12 neg_lo:[1,1,0]
	flat_store_b32 v[8:9], v12
	flat_load_b32 v12, v[4:5]
	flat_load_b32 v20, v[6:7] offset:4
	s_waitcnt vmcnt(0) lgkmcnt(0)
	v_dot4_i32_iu8 v12, v12, v20, v13 neg_lo:[1,1,0]
	flat_store_b32 v[8:9], v12 offset:4
	flat_load_b32 v12, v[4:5]
	flat_load_b32 v13, v[6:7] offset:8
	s_waitcnt vmcnt(0) lgkmcnt(0)
	v_dot4_i32_iu8 v12, v12, v13, v14 neg_lo:[1,1,0]
	flat_store_b32 v[8:9], v12 offset:8
	;; [unrolled: 5-line block ×3, first 2 shown]
	flat_load_b32 v24, v[4:5] offset:4
	flat_load_b32 v25, v[6:7]
	s_clause 0x1
	flat_load_b128 v[12:15], v[8:9] offset:32
	flat_load_b128 v[20:23], v[8:9] offset:48
	s_waitcnt vmcnt(1) lgkmcnt(1)
	v_dot4_i32_iu8 v12, v24, v25, v12 neg_lo:[1,1,0]
	flat_store_b32 v[8:9], v12 offset:32
	flat_load_b32 v12, v[4:5] offset:4
	flat_load_b32 v24, v[6:7] offset:4
	s_waitcnt vmcnt(0) lgkmcnt(0)
	v_dot4_i32_iu8 v12, v12, v24, v13 neg_lo:[1,1,0]
	flat_store_b32 v[8:9], v12 offset:36
	flat_load_b32 v12, v[4:5] offset:4
	flat_load_b32 v13, v[6:7] offset:8
	s_waitcnt vmcnt(0) lgkmcnt(0)
	v_dot4_i32_iu8 v12, v12, v13, v14 neg_lo:[1,1,0]
	flat_store_b32 v[8:9], v12 offset:40
	flat_load_b32 v12, v[4:5] offset:4
	flat_load_b32 v13, v[6:7] offset:12
	s_waitcnt vmcnt(0) lgkmcnt(0)
	v_dot4_i32_iu8 v12, v12, v13, v15 neg_lo:[1,1,0]
	flat_store_b32 v[8:9], v12 offset:44
	flat_load_b32 v28, v[4:5] offset:8
	flat_load_b32 v29, v[6:7]
	s_clause 0x1
	flat_load_b128 v[12:15], v[8:9] offset:64
	flat_load_b128 v[24:27], v[8:9] offset:80
	s_waitcnt vmcnt(1) lgkmcnt(1)
	v_dot4_i32_iu8 v12, v28, v29, v12 neg_lo:[1,1,0]
	flat_store_b32 v[8:9], v12 offset:64
	flat_load_b32 v12, v[4:5] offset:8
	flat_load_b32 v28, v[6:7] offset:4
	s_waitcnt vmcnt(0) lgkmcnt(0)
	v_dot4_i32_iu8 v12, v12, v28, v13 neg_lo:[1,1,0]
	flat_store_b32 v[8:9], v12 offset:68
	flat_load_b32 v12, v[4:5] offset:8
	flat_load_b32 v13, v[6:7] offset:8
	s_waitcnt vmcnt(0) lgkmcnt(0)
	v_dot4_i32_iu8 v12, v12, v13, v14 neg_lo:[1,1,0]
	flat_store_b32 v[8:9], v12 offset:72
	flat_load_b32 v12, v[4:5] offset:8
	flat_load_b32 v13, v[6:7] offset:12
	s_waitcnt vmcnt(0) lgkmcnt(0)
	v_dot4_i32_iu8 v12, v12, v13, v15 neg_lo:[1,1,0]
	flat_store_b32 v[8:9], v12 offset:76
	;; [unrolled: 23-line block ×3, first 2 shown]
	flat_load_b32 v12, v[4:5]
	flat_load_b32 v13, v[6:7] offset:16
	s_waitcnt vmcnt(0) lgkmcnt(0)
	v_dot4_i32_iu8 v12, v12, v13, v16 neg_lo:[1,1,0]
	flat_store_b32 v[8:9], v12 offset:16
	flat_load_b32 v12, v[4:5]
	flat_load_b32 v13, v[6:7] offset:20
	s_waitcnt vmcnt(0) lgkmcnt(0)
	v_dot4_i32_iu8 v12, v12, v13, v17 neg_lo:[1,1,0]
	flat_store_b32 v[8:9], v12 offset:20
	;; [unrolled: 5-line block ×4, first 2 shown]
	flat_load_b32 v12, v[4:5] offset:4
	flat_load_b32 v13, v[6:7] offset:16
	s_waitcnt vmcnt(0) lgkmcnt(0)
	v_dot4_i32_iu8 v12, v12, v13, v20 neg_lo:[1,1,0]
	flat_store_b32 v[8:9], v12 offset:48
	flat_load_b32 v12, v[4:5] offset:4
	flat_load_b32 v13, v[6:7] offset:20
	s_waitcnt vmcnt(0) lgkmcnt(0)
	v_dot4_i32_iu8 v12, v12, v13, v21 neg_lo:[1,1,0]
	flat_store_b32 v[8:9], v12 offset:52
	;; [unrolled: 5-line block ×12, first 2 shown]
	flat_load_b32 v14, v[0:1] offset:16
	flat_load_b64 v[12:13], v[2:3]
	s_waitcnt vmcnt(1) lgkmcnt(1)
	v_ashrrev_i32_e32 v15, 31, v14
	s_waitcnt vmcnt(0) lgkmcnt(0)
	v_add_co_u32 v12, vcc_lo, v12, v14
	s_delay_alu instid0(VALU_DEP_2)
	v_add_co_ci_u32_e32 v13, vcc_lo, v13, v15, vcc_lo
	flat_load_b128 v[12:15], v[12:13] offset:3072
	flat_load_b32 v20, v[4:5] offset:16
	s_waitcnt vmcnt(1) lgkmcnt(1)
	flat_store_b128 v[4:5], v[12:15]
	flat_load_b32 v21, v[6:7]
	s_clause 0x1
	flat_load_b128 v[12:15], v[8:9] offset:128
	flat_load_b128 v[16:19], v[8:9] offset:160
	s_waitcnt vmcnt(1) lgkmcnt(1)
	v_dot4_i32_iu8 v12, v20, v21, v12 neg_lo:[1,1,0]
	flat_store_b32 v[8:9], v12 offset:128
	flat_load_b32 v12, v[4:5] offset:16
	flat_load_b32 v20, v[6:7] offset:4
	s_waitcnt vmcnt(0) lgkmcnt(0)
	v_dot4_i32_iu8 v12, v12, v20, v13 neg_lo:[1,1,0]
	flat_store_b32 v[8:9], v12 offset:132
	flat_load_b32 v12, v[4:5] offset:16
	flat_load_b32 v13, v[6:7] offset:8
	;; [unrolled: 5-line block ×3, first 2 shown]
	s_waitcnt vmcnt(0) lgkmcnt(0)
	v_dot4_i32_iu8 v12, v12, v13, v15 neg_lo:[1,1,0]
	flat_store_b32 v[8:9], v12 offset:140
	flat_load_b32 v12, v[4:5] offset:20
	flat_load_b32 v13, v[6:7]
	s_waitcnt vmcnt(0) lgkmcnt(0)
	v_dot4_i32_iu8 v12, v12, v13, v16 neg_lo:[1,1,0]
	flat_store_b32 v[8:9], v12 offset:160
	flat_load_b32 v12, v[4:5] offset:20
	flat_load_b32 v13, v[6:7] offset:4
	s_waitcnt vmcnt(0) lgkmcnt(0)
	v_dot4_i32_iu8 v12, v12, v13, v17 neg_lo:[1,1,0]
	flat_store_b32 v[8:9], v12 offset:164
	flat_load_b32 v12, v[4:5] offset:20
	flat_load_b32 v13, v[6:7] offset:8
	;; [unrolled: 5-line block ×3, first 2 shown]
	s_waitcnt vmcnt(0) lgkmcnt(0)
	v_dot4_i32_iu8 v12, v12, v13, v19 neg_lo:[1,1,0]
	flat_store_b32 v[8:9], v12 offset:172
	flat_load_b32 v20, v[4:5] offset:24
	flat_load_b32 v21, v[6:7]
	s_clause 0x1
	flat_load_b128 v[12:15], v[8:9] offset:192
	flat_load_b128 v[16:19], v[8:9] offset:224
	s_waitcnt vmcnt(1) lgkmcnt(1)
	v_dot4_i32_iu8 v12, v20, v21, v12 neg_lo:[1,1,0]
	flat_store_b32 v[8:9], v12 offset:192
	flat_load_b32 v12, v[4:5] offset:24
	flat_load_b32 v20, v[6:7] offset:4
	s_waitcnt vmcnt(0) lgkmcnt(0)
	v_dot4_i32_iu8 v12, v12, v20, v13 neg_lo:[1,1,0]
	flat_store_b32 v[8:9], v12 offset:196
	flat_load_b32 v12, v[4:5] offset:24
	flat_load_b32 v13, v[6:7] offset:8
	;; [unrolled: 5-line block ×3, first 2 shown]
	s_waitcnt vmcnt(0) lgkmcnt(0)
	v_dot4_i32_iu8 v12, v12, v13, v15 neg_lo:[1,1,0]
	flat_store_b32 v[8:9], v12 offset:204
	flat_load_b32 v12, v[4:5] offset:28
	flat_load_b32 v13, v[6:7]
	s_waitcnt vmcnt(0) lgkmcnt(0)
	v_dot4_i32_iu8 v12, v12, v13, v16 neg_lo:[1,1,0]
	flat_store_b32 v[8:9], v12 offset:224
	flat_load_b32 v12, v[4:5] offset:28
	flat_load_b32 v13, v[6:7] offset:4
	s_waitcnt vmcnt(0) lgkmcnt(0)
	v_dot4_i32_iu8 v12, v12, v13, v17 neg_lo:[1,1,0]
	flat_store_b32 v[8:9], v12 offset:228
	flat_load_b32 v12, v[4:5] offset:28
	flat_load_b32 v13, v[6:7] offset:8
	;; [unrolled: 5-line block ×3, first 2 shown]
	s_waitcnt vmcnt(0) lgkmcnt(0)
	v_dot4_i32_iu8 v12, v12, v13, v19 neg_lo:[1,1,0]
	flat_store_b32 v[8:9], v12 offset:236
	flat_load_b32 v14, v[0:1] offset:48
	flat_load_b64 v[12:13], v[10:11]
	s_waitcnt vmcnt(1) lgkmcnt(1)
	v_ashrrev_i32_e32 v15, 31, v14
	s_waitcnt vmcnt(0) lgkmcnt(0)
	v_add_co_u32 v12, vcc_lo, v12, v14
	s_delay_alu instid0(VALU_DEP_2)
	v_add_co_ci_u32_e32 v13, vcc_lo, v13, v15, vcc_lo
	flat_load_b128 v[12:15], v[12:13] offset:3072
	flat_load_b32 v20, v[6:7] offset:16
	s_waitcnt vmcnt(1) lgkmcnt(1)
	flat_store_b128 v[6:7], v[12:15]
	flat_load_b32 v21, v[4:5] offset:16
	s_clause 0x1
	flat_load_b128 v[12:15], v[8:9] offset:144
	flat_load_b128 v[16:19], v[8:9] offset:176
	s_waitcnt vmcnt(1) lgkmcnt(1)
	v_dot4_i32_iu8 v12, v21, v20, v12 neg_lo:[1,1,0]
	flat_store_b32 v[8:9], v12 offset:144
	flat_load_b32 v12, v[4:5] offset:16
	flat_load_b32 v20, v[6:7] offset:20
	s_waitcnt vmcnt(0) lgkmcnt(0)
	v_dot4_i32_iu8 v12, v12, v20, v13 neg_lo:[1,1,0]
	flat_store_b32 v[8:9], v12 offset:148
	flat_load_b32 v12, v[4:5] offset:16
	flat_load_b32 v13, v[6:7] offset:24
	;; [unrolled: 5-line block ×8, first 2 shown]
	s_clause 0x1
	flat_load_b128 v[12:15], v[8:9] offset:208
	flat_load_b128 v[16:19], v[8:9] offset:240
	s_waitcnt vmcnt(1) lgkmcnt(1)
	v_dot4_i32_iu8 v12, v20, v21, v12 neg_lo:[1,1,0]
	flat_store_b32 v[8:9], v12 offset:208
	flat_load_b32 v12, v[4:5] offset:24
	flat_load_b32 v20, v[6:7] offset:20
	s_waitcnt vmcnt(0) lgkmcnt(0)
	v_dot4_i32_iu8 v12, v12, v20, v13 neg_lo:[1,1,0]
	flat_store_b32 v[8:9], v12 offset:212
	flat_load_b32 v12, v[4:5] offset:24
	flat_load_b32 v13, v[6:7] offset:24
	;; [unrolled: 5-line block ×7, first 2 shown]
	s_waitcnt vmcnt(0) lgkmcnt(0)
	v_dot4_i32_iu8 v12, v12, v13, v19 neg_lo:[1,1,0]
	flat_store_b32 v[8:9], v12 offset:252
	flat_load_b32 v14, v[0:1] offset:48
	flat_load_b64 v[12:13], v[10:11]
	s_waitcnt vmcnt(1) lgkmcnt(1)
	v_ashrrev_i32_e32 v15, 31, v14
	s_waitcnt vmcnt(0) lgkmcnt(0)
	v_add_co_u32 v12, vcc_lo, v12, v14
	s_delay_alu instid0(VALU_DEP_2)
	v_add_co_ci_u32_e32 v13, vcc_lo, v13, v15, vcc_lo
	flat_load_b128 v[12:15], v[12:13] offset:3328
	s_waitcnt vmcnt(0) lgkmcnt(0)
	flat_store_b128 v[6:7], v[12:15] offset:16
	flat_load_b32 v14, v[0:1] offset:16
	flat_load_b64 v[12:13], v[2:3]
	s_waitcnt vmcnt(1) lgkmcnt(1)
	v_ashrrev_i32_e32 v15, 31, v14
	s_waitcnt vmcnt(0) lgkmcnt(0)
	v_add_co_u32 v12, vcc_lo, v12, v14
	s_delay_alu instid0(VALU_DEP_2)
	v_add_co_ci_u32_e32 v13, vcc_lo, v13, v15, vcc_lo
	flat_load_b128 v[12:15], v[12:13] offset:3328
	flat_load_b32 v20, v[4:5]
	s_waitcnt vmcnt(1) lgkmcnt(1)
	flat_store_b128 v[4:5], v[12:15] offset:16
	flat_load_b32 v21, v[6:7]
	s_clause 0x1
	flat_load_b128 v[12:15], v[8:9]
	flat_load_b128 v[16:19], v[8:9] offset:16
	s_waitcnt vmcnt(1) lgkmcnt(1)
	v_dot4_i32_iu8 v12, v20, v21, v12 neg_lo:[1,1,0]
	flat_store_b32 v[8:9], v12
	flat_load_b32 v12, v[4:5]
	flat_load_b32 v20, v[6:7] offset:4
	s_waitcnt vmcnt(0) lgkmcnt(0)
	v_dot4_i32_iu8 v12, v12, v20, v13 neg_lo:[1,1,0]
	flat_store_b32 v[8:9], v12 offset:4
	flat_load_b32 v12, v[4:5]
	flat_load_b32 v13, v[6:7] offset:8
	s_waitcnt vmcnt(0) lgkmcnt(0)
	v_dot4_i32_iu8 v12, v12, v13, v14 neg_lo:[1,1,0]
	flat_store_b32 v[8:9], v12 offset:8
	;; [unrolled: 5-line block ×3, first 2 shown]
	flat_load_b32 v24, v[4:5] offset:4
	flat_load_b32 v25, v[6:7]
	s_clause 0x1
	flat_load_b128 v[12:15], v[8:9] offset:32
	flat_load_b128 v[20:23], v[8:9] offset:48
	s_waitcnt vmcnt(1) lgkmcnt(1)
	v_dot4_i32_iu8 v12, v24, v25, v12 neg_lo:[1,1,0]
	flat_store_b32 v[8:9], v12 offset:32
	flat_load_b32 v12, v[4:5] offset:4
	flat_load_b32 v24, v[6:7] offset:4
	s_waitcnt vmcnt(0) lgkmcnt(0)
	v_dot4_i32_iu8 v12, v12, v24, v13 neg_lo:[1,1,0]
	flat_store_b32 v[8:9], v12 offset:36
	flat_load_b32 v12, v[4:5] offset:4
	flat_load_b32 v13, v[6:7] offset:8
	s_waitcnt vmcnt(0) lgkmcnt(0)
	v_dot4_i32_iu8 v12, v12, v13, v14 neg_lo:[1,1,0]
	flat_store_b32 v[8:9], v12 offset:40
	flat_load_b32 v12, v[4:5] offset:4
	flat_load_b32 v13, v[6:7] offset:12
	s_waitcnt vmcnt(0) lgkmcnt(0)
	v_dot4_i32_iu8 v12, v12, v13, v15 neg_lo:[1,1,0]
	flat_store_b32 v[8:9], v12 offset:44
	flat_load_b32 v28, v[4:5] offset:8
	flat_load_b32 v29, v[6:7]
	s_clause 0x1
	flat_load_b128 v[12:15], v[8:9] offset:64
	flat_load_b128 v[24:27], v[8:9] offset:80
	s_waitcnt vmcnt(1) lgkmcnt(1)
	v_dot4_i32_iu8 v12, v28, v29, v12 neg_lo:[1,1,0]
	flat_store_b32 v[8:9], v12 offset:64
	flat_load_b32 v12, v[4:5] offset:8
	flat_load_b32 v28, v[6:7] offset:4
	s_waitcnt vmcnt(0) lgkmcnt(0)
	v_dot4_i32_iu8 v12, v12, v28, v13 neg_lo:[1,1,0]
	flat_store_b32 v[8:9], v12 offset:68
	flat_load_b32 v12, v[4:5] offset:8
	flat_load_b32 v13, v[6:7] offset:8
	s_waitcnt vmcnt(0) lgkmcnt(0)
	v_dot4_i32_iu8 v12, v12, v13, v14 neg_lo:[1,1,0]
	flat_store_b32 v[8:9], v12 offset:72
	flat_load_b32 v12, v[4:5] offset:8
	flat_load_b32 v13, v[6:7] offset:12
	s_waitcnt vmcnt(0) lgkmcnt(0)
	v_dot4_i32_iu8 v12, v12, v13, v15 neg_lo:[1,1,0]
	flat_store_b32 v[8:9], v12 offset:76
	;; [unrolled: 23-line block ×3, first 2 shown]
	flat_load_b32 v12, v[4:5]
	flat_load_b32 v13, v[6:7] offset:16
	s_waitcnt vmcnt(0) lgkmcnt(0)
	v_dot4_i32_iu8 v12, v12, v13, v16 neg_lo:[1,1,0]
	flat_store_b32 v[8:9], v12 offset:16
	flat_load_b32 v12, v[4:5]
	flat_load_b32 v13, v[6:7] offset:20
	s_waitcnt vmcnt(0) lgkmcnt(0)
	v_dot4_i32_iu8 v12, v12, v13, v17 neg_lo:[1,1,0]
	flat_store_b32 v[8:9], v12 offset:20
	;; [unrolled: 5-line block ×4, first 2 shown]
	flat_load_b32 v12, v[4:5] offset:4
	flat_load_b32 v13, v[6:7] offset:16
	s_waitcnt vmcnt(0) lgkmcnt(0)
	v_dot4_i32_iu8 v12, v12, v13, v20 neg_lo:[1,1,0]
	flat_store_b32 v[8:9], v12 offset:48
	flat_load_b32 v12, v[4:5] offset:4
	flat_load_b32 v13, v[6:7] offset:20
	s_waitcnt vmcnt(0) lgkmcnt(0)
	v_dot4_i32_iu8 v12, v12, v13, v21 neg_lo:[1,1,0]
	flat_store_b32 v[8:9], v12 offset:52
	;; [unrolled: 5-line block ×12, first 2 shown]
	flat_load_b32 v14, v[0:1] offset:16
	flat_load_b64 v[12:13], v[2:3]
	s_waitcnt vmcnt(1) lgkmcnt(1)
	v_ashrrev_i32_e32 v15, 31, v14
	s_waitcnt vmcnt(0) lgkmcnt(0)
	v_add_co_u32 v12, vcc_lo, v12, v14
	s_delay_alu instid0(VALU_DEP_2)
	v_add_co_ci_u32_e32 v13, vcc_lo, v13, v15, vcc_lo
	flat_load_b128 v[12:15], v[12:13] offset:3584
	flat_load_b32 v16, v[4:5] offset:16
	s_waitcnt vmcnt(1) lgkmcnt(1)
	flat_store_b128 v[4:5], v[12:15]
	flat_load_b32 v17, v[6:7]
	flat_load_b128 v[12:15], v[8:9] offset:128
	s_waitcnt vmcnt(0) lgkmcnt(0)
	v_dot4_i32_iu8 v12, v16, v17, v12 neg_lo:[1,1,0]
	flat_store_b32 v[8:9], v12 offset:128
	flat_load_b32 v12, v[4:5] offset:16
	flat_load_b32 v16, v[6:7] offset:4
	s_waitcnt vmcnt(0) lgkmcnt(0)
	v_dot4_i32_iu8 v12, v12, v16, v13 neg_lo:[1,1,0]
	flat_store_b32 v[8:9], v12 offset:132
	flat_load_b32 v12, v[4:5] offset:16
	flat_load_b32 v13, v[6:7] offset:8
	;; [unrolled: 5-line block ×3, first 2 shown]
	s_waitcnt vmcnt(0) lgkmcnt(0)
	v_dot4_i32_iu8 v12, v12, v13, v15 neg_lo:[1,1,0]
	flat_store_b32 v[8:9], v12 offset:140
	flat_load_b32 v16, v[4:5] offset:20
	flat_load_b32 v17, v[6:7]
	flat_load_b128 v[12:15], v[8:9] offset:160
	s_waitcnt vmcnt(0) lgkmcnt(0)
	v_dot4_i32_iu8 v12, v16, v17, v12 neg_lo:[1,1,0]
	flat_store_b32 v[8:9], v12 offset:160
	flat_load_b32 v12, v[4:5] offset:20
	flat_load_b32 v16, v[6:7] offset:4
	s_waitcnt vmcnt(0) lgkmcnt(0)
	v_dot4_i32_iu8 v12, v12, v16, v13 neg_lo:[1,1,0]
	flat_store_b32 v[8:9], v12 offset:164
	flat_load_b32 v12, v[4:5] offset:20
	flat_load_b32 v13, v[6:7] offset:8
	;; [unrolled: 5-line block ×3, first 2 shown]
	s_waitcnt vmcnt(0) lgkmcnt(0)
	v_dot4_i32_iu8 v12, v12, v13, v15 neg_lo:[1,1,0]
	flat_store_b32 v[8:9], v12 offset:172
	flat_load_b32 v20, v[4:5] offset:24
	flat_load_b32 v21, v[6:7]
	s_clause 0x1
	flat_load_b128 v[12:15], v[8:9] offset:192
	flat_load_b128 v[16:19], v[8:9] offset:224
	s_waitcnt vmcnt(1) lgkmcnt(1)
	v_dot4_i32_iu8 v12, v20, v21, v12 neg_lo:[1,1,0]
	flat_store_b32 v[8:9], v12 offset:192
	flat_load_b32 v12, v[4:5] offset:24
	flat_load_b32 v20, v[6:7] offset:4
	s_waitcnt vmcnt(0) lgkmcnt(0)
	v_dot4_i32_iu8 v12, v12, v20, v13 neg_lo:[1,1,0]
	flat_store_b32 v[8:9], v12 offset:196
	flat_load_b32 v12, v[4:5] offset:24
	flat_load_b32 v13, v[6:7] offset:8
	;; [unrolled: 5-line block ×3, first 2 shown]
	s_waitcnt vmcnt(0) lgkmcnt(0)
	v_dot4_i32_iu8 v12, v12, v13, v15 neg_lo:[1,1,0]
	flat_store_b32 v[8:9], v12 offset:204
	flat_load_b32 v12, v[4:5] offset:28
	flat_load_b32 v13, v[6:7]
	s_waitcnt vmcnt(0) lgkmcnt(0)
	v_dot4_i32_iu8 v12, v12, v13, v16 neg_lo:[1,1,0]
	flat_store_b32 v[8:9], v12 offset:224
	flat_load_b32 v12, v[4:5] offset:28
	flat_load_b32 v13, v[6:7] offset:4
	s_waitcnt vmcnt(0) lgkmcnt(0)
	v_dot4_i32_iu8 v12, v12, v13, v17 neg_lo:[1,1,0]
	flat_store_b32 v[8:9], v12 offset:228
	flat_load_b32 v12, v[4:5] offset:28
	flat_load_b32 v13, v[6:7] offset:8
	s_waitcnt vmcnt(0) lgkmcnt(0)
	v_dot4_i32_iu8 v12, v12, v13, v18 neg_lo:[1,1,0]
	flat_store_b32 v[8:9], v12 offset:232
	flat_load_b32 v12, v[4:5] offset:28
	flat_load_b32 v13, v[6:7] offset:12
	s_waitcnt vmcnt(0) lgkmcnt(0)
	v_dot4_i32_iu8 v12, v12, v13, v19 neg_lo:[1,1,0]
	flat_store_b32 v[8:9], v12 offset:236
	flat_load_b32 v14, v[0:1] offset:48
	flat_load_b64 v[12:13], v[10:11]
	s_waitcnt vmcnt(1) lgkmcnt(1)
	v_ashrrev_i32_e32 v15, 31, v14
	s_waitcnt vmcnt(0) lgkmcnt(0)
	v_add_co_u32 v12, vcc_lo, v12, v14
	s_delay_alu instid0(VALU_DEP_2)
	v_add_co_ci_u32_e32 v13, vcc_lo, v13, v15, vcc_lo
	flat_load_b128 v[12:15], v[12:13] offset:3584
	flat_load_b32 v20, v[6:7] offset:16
	s_waitcnt vmcnt(1) lgkmcnt(1)
	flat_store_b128 v[6:7], v[12:15]
	flat_load_b32 v21, v[4:5] offset:16
	s_clause 0x1
	flat_load_b128 v[12:15], v[8:9] offset:144
	flat_load_b128 v[16:19], v[8:9] offset:176
	s_waitcnt vmcnt(1) lgkmcnt(1)
	v_dot4_i32_iu8 v12, v21, v20, v12 neg_lo:[1,1,0]
	flat_store_b32 v[8:9], v12 offset:144
	flat_load_b32 v12, v[4:5] offset:16
	flat_load_b32 v20, v[6:7] offset:20
	s_waitcnt vmcnt(0) lgkmcnt(0)
	v_dot4_i32_iu8 v12, v12, v20, v13 neg_lo:[1,1,0]
	flat_store_b32 v[8:9], v12 offset:148
	flat_load_b32 v12, v[4:5] offset:16
	flat_load_b32 v13, v[6:7] offset:24
	;; [unrolled: 5-line block ×8, first 2 shown]
	s_clause 0x1
	flat_load_b128 v[12:15], v[8:9] offset:208
	flat_load_b128 v[16:19], v[8:9] offset:240
	s_waitcnt vmcnt(1) lgkmcnt(1)
	v_dot4_i32_iu8 v12, v20, v21, v12 neg_lo:[1,1,0]
	flat_store_b32 v[8:9], v12 offset:208
	flat_load_b32 v12, v[4:5] offset:24
	flat_load_b32 v20, v[6:7] offset:20
	s_waitcnt vmcnt(0) lgkmcnt(0)
	v_dot4_i32_iu8 v12, v12, v20, v13 neg_lo:[1,1,0]
	flat_store_b32 v[8:9], v12 offset:212
	flat_load_b32 v12, v[4:5] offset:24
	flat_load_b32 v13, v[6:7] offset:24
	;; [unrolled: 5-line block ×7, first 2 shown]
	s_waitcnt vmcnt(0) lgkmcnt(0)
	v_dot4_i32_iu8 v12, v12, v13, v19 neg_lo:[1,1,0]
	flat_store_b32 v[8:9], v12 offset:252
	flat_load_b32 v14, v[0:1] offset:48
	flat_load_b64 v[12:13], v[10:11]
	s_waitcnt vmcnt(1) lgkmcnt(1)
	v_ashrrev_i32_e32 v15, 31, v14
	s_waitcnt vmcnt(0) lgkmcnt(0)
	v_add_co_u32 v12, vcc_lo, v12, v14
	s_delay_alu instid0(VALU_DEP_2)
	v_add_co_ci_u32_e32 v13, vcc_lo, v13, v15, vcc_lo
	flat_load_b128 v[12:15], v[12:13] offset:3840
	s_waitcnt vmcnt(0) lgkmcnt(0)
	flat_store_b128 v[6:7], v[12:15] offset:16
	flat_load_b32 v14, v[0:1] offset:16
	flat_load_b64 v[12:13], v[2:3]
	s_waitcnt vmcnt(1) lgkmcnt(1)
	v_ashrrev_i32_e32 v15, 31, v14
	s_waitcnt vmcnt(0) lgkmcnt(0)
	v_add_co_u32 v12, vcc_lo, v12, v14
	s_delay_alu instid0(VALU_DEP_2)
	v_add_co_ci_u32_e32 v13, vcc_lo, v13, v15, vcc_lo
	flat_load_b128 v[12:15], v[12:13] offset:3840
	flat_load_b32 v20, v[4:5]
	s_waitcnt vmcnt(1) lgkmcnt(1)
	flat_store_b128 v[4:5], v[12:15] offset:16
	flat_load_b32 v21, v[6:7]
	s_clause 0x1
	flat_load_b128 v[12:15], v[8:9]
	flat_load_b128 v[16:19], v[8:9] offset:16
	s_waitcnt vmcnt(1) lgkmcnt(1)
	v_dot4_i32_iu8 v12, v20, v21, v12 neg_lo:[1,1,0]
	flat_store_b32 v[8:9], v12
	flat_load_b32 v12, v[4:5]
	flat_load_b32 v20, v[6:7] offset:4
	s_waitcnt vmcnt(0) lgkmcnt(0)
	v_dot4_i32_iu8 v12, v12, v20, v13 neg_lo:[1,1,0]
	flat_store_b32 v[8:9], v12 offset:4
	flat_load_b32 v12, v[4:5]
	flat_load_b32 v13, v[6:7] offset:8
	s_waitcnt vmcnt(0) lgkmcnt(0)
	v_dot4_i32_iu8 v12, v12, v13, v14 neg_lo:[1,1,0]
	flat_store_b32 v[8:9], v12 offset:8
	;; [unrolled: 5-line block ×3, first 2 shown]
	flat_load_b32 v24, v[4:5] offset:4
	flat_load_b32 v25, v[6:7]
	s_clause 0x1
	flat_load_b128 v[12:15], v[8:9] offset:32
	flat_load_b128 v[20:23], v[8:9] offset:48
	s_waitcnt vmcnt(1) lgkmcnt(1)
	v_dot4_i32_iu8 v12, v24, v25, v12 neg_lo:[1,1,0]
	flat_store_b32 v[8:9], v12 offset:32
	flat_load_b32 v12, v[4:5] offset:4
	flat_load_b32 v24, v[6:7] offset:4
	s_waitcnt vmcnt(0) lgkmcnt(0)
	v_dot4_i32_iu8 v12, v12, v24, v13 neg_lo:[1,1,0]
	flat_store_b32 v[8:9], v12 offset:36
	flat_load_b32 v12, v[4:5] offset:4
	flat_load_b32 v13, v[6:7] offset:8
	s_waitcnt vmcnt(0) lgkmcnt(0)
	v_dot4_i32_iu8 v12, v12, v13, v14 neg_lo:[1,1,0]
	flat_store_b32 v[8:9], v12 offset:40
	flat_load_b32 v12, v[4:5] offset:4
	flat_load_b32 v13, v[6:7] offset:12
	s_waitcnt vmcnt(0) lgkmcnt(0)
	v_dot4_i32_iu8 v12, v12, v13, v15 neg_lo:[1,1,0]
	flat_store_b32 v[8:9], v12 offset:44
	flat_load_b32 v28, v[4:5] offset:8
	flat_load_b32 v29, v[6:7]
	s_clause 0x1
	flat_load_b128 v[12:15], v[8:9] offset:64
	flat_load_b128 v[24:27], v[8:9] offset:80
	s_waitcnt vmcnt(1) lgkmcnt(1)
	v_dot4_i32_iu8 v12, v28, v29, v12 neg_lo:[1,1,0]
	flat_store_b32 v[8:9], v12 offset:64
	flat_load_b32 v12, v[4:5] offset:8
	flat_load_b32 v28, v[6:7] offset:4
	s_waitcnt vmcnt(0) lgkmcnt(0)
	v_dot4_i32_iu8 v12, v12, v28, v13 neg_lo:[1,1,0]
	flat_store_b32 v[8:9], v12 offset:68
	flat_load_b32 v12, v[4:5] offset:8
	flat_load_b32 v13, v[6:7] offset:8
	s_waitcnt vmcnt(0) lgkmcnt(0)
	v_dot4_i32_iu8 v12, v12, v13, v14 neg_lo:[1,1,0]
	flat_store_b32 v[8:9], v12 offset:72
	flat_load_b32 v12, v[4:5] offset:8
	flat_load_b32 v13, v[6:7] offset:12
	s_waitcnt vmcnt(0) lgkmcnt(0)
	v_dot4_i32_iu8 v12, v12, v13, v15 neg_lo:[1,1,0]
	flat_store_b32 v[8:9], v12 offset:76
	;; [unrolled: 23-line block ×3, first 2 shown]
	flat_load_b32 v12, v[4:5]
	flat_load_b32 v13, v[6:7] offset:16
	s_waitcnt vmcnt(0) lgkmcnt(0)
	v_dot4_i32_iu8 v12, v12, v13, v16 neg_lo:[1,1,0]
	flat_store_b32 v[8:9], v12 offset:16
	flat_load_b32 v12, v[4:5]
	flat_load_b32 v13, v[6:7] offset:20
	s_waitcnt vmcnt(0) lgkmcnt(0)
	v_dot4_i32_iu8 v12, v12, v13, v17 neg_lo:[1,1,0]
	flat_store_b32 v[8:9], v12 offset:20
	;; [unrolled: 5-line block ×4, first 2 shown]
	flat_load_b32 v12, v[4:5] offset:4
	flat_load_b32 v13, v[6:7] offset:16
	s_waitcnt vmcnt(0) lgkmcnt(0)
	v_dot4_i32_iu8 v12, v12, v13, v20 neg_lo:[1,1,0]
	flat_store_b32 v[8:9], v12 offset:48
	flat_load_b32 v12, v[4:5] offset:4
	flat_load_b32 v13, v[6:7] offset:20
	s_waitcnt vmcnt(0) lgkmcnt(0)
	v_dot4_i32_iu8 v12, v12, v13, v21 neg_lo:[1,1,0]
	flat_store_b32 v[8:9], v12 offset:52
	flat_load_b32 v12, v[4:5] offset:4
	flat_load_b32 v13, v[6:7] offset:24
	s_waitcnt vmcnt(0) lgkmcnt(0)
	v_dot4_i32_iu8 v12, v12, v13, v22 neg_lo:[1,1,0]
	flat_store_b32 v[8:9], v12 offset:56
	flat_load_b32 v12, v[4:5] offset:4
	flat_load_b32 v13, v[6:7] offset:28
	s_waitcnt vmcnt(0) lgkmcnt(0)
	v_dot4_i32_iu8 v12, v12, v13, v23 neg_lo:[1,1,0]
	flat_store_b32 v[8:9], v12 offset:60
	flat_load_b32 v12, v[4:5] offset:8
	flat_load_b32 v13, v[6:7] offset:16
	s_waitcnt vmcnt(0) lgkmcnt(0)
	v_dot4_i32_iu8 v12, v12, v13, v24 neg_lo:[1,1,0]
	flat_store_b32 v[8:9], v12 offset:80
	flat_load_b32 v12, v[4:5] offset:8
	flat_load_b32 v13, v[6:7] offset:20
	s_waitcnt vmcnt(0) lgkmcnt(0)
	v_dot4_i32_iu8 v12, v12, v13, v25 neg_lo:[1,1,0]
	flat_store_b32 v[8:9], v12 offset:84
	flat_load_b32 v12, v[4:5] offset:8
	flat_load_b32 v13, v[6:7] offset:24
	s_waitcnt vmcnt(0) lgkmcnt(0)
	v_dot4_i32_iu8 v12, v12, v13, v26 neg_lo:[1,1,0]
	flat_store_b32 v[8:9], v12 offset:88
	flat_load_b32 v12, v[4:5] offset:8
	flat_load_b32 v13, v[6:7] offset:28
	s_waitcnt vmcnt(0) lgkmcnt(0)
	v_dot4_i32_iu8 v12, v12, v13, v27 neg_lo:[1,1,0]
	flat_store_b32 v[8:9], v12 offset:92
	flat_load_b32 v12, v[4:5] offset:12
	flat_load_b32 v13, v[6:7] offset:16
	s_waitcnt vmcnt(0) lgkmcnt(0)
	v_dot4_i32_iu8 v12, v12, v13, v28 neg_lo:[1,1,0]
	flat_store_b32 v[8:9], v12 offset:112
	flat_load_b32 v12, v[4:5] offset:12
	flat_load_b32 v13, v[6:7] offset:20
	s_waitcnt vmcnt(0) lgkmcnt(0)
	v_dot4_i32_iu8 v12, v12, v13, v29 neg_lo:[1,1,0]
	flat_store_b32 v[8:9], v12 offset:116
	flat_load_b32 v12, v[4:5] offset:12
	flat_load_b32 v13, v[6:7] offset:24
	s_waitcnt vmcnt(0) lgkmcnt(0)
	v_dot4_i32_iu8 v12, v12, v13, v30 neg_lo:[1,1,0]
	flat_store_b32 v[8:9], v12 offset:120
	flat_load_b32 v12, v[4:5] offset:12
	flat_load_b32 v13, v[6:7] offset:28
	s_waitcnt vmcnt(0) lgkmcnt(0)
	v_dot4_i32_iu8 v12, v12, v13, v31 neg_lo:[1,1,0]
	flat_store_b32 v[8:9], v12 offset:124
	flat_load_b32 v14, v[0:1] offset:16
	flat_load_b64 v[12:13], v[2:3]
	s_waitcnt vmcnt(1) lgkmcnt(1)
	v_ashrrev_i32_e32 v15, 31, v14
	s_waitcnt vmcnt(0) lgkmcnt(0)
	v_add_co_u32 v12, vcc_lo, v12, v14
	s_delay_alu instid0(VALU_DEP_2) | instskip(NEXT) | instid1(VALU_DEP_2)
	v_add_co_ci_u32_e32 v13, vcc_lo, v13, v15, vcc_lo
	v_add_co_u32 v12, vcc_lo, 0x1000, v12
	s_delay_alu instid0(VALU_DEP_2)
	v_add_co_ci_u32_e32 v13, vcc_lo, 0, v13, vcc_lo
	flat_load_b128 v[12:15], v[12:13]
	flat_load_b32 v20, v[4:5] offset:16
	s_waitcnt vmcnt(1) lgkmcnt(1)
	flat_store_b128 v[4:5], v[12:15]
	flat_load_b32 v21, v[6:7]
	s_clause 0x1
	flat_load_b128 v[12:15], v[8:9] offset:128
	flat_load_b128 v[16:19], v[8:9] offset:160
	s_waitcnt vmcnt(1) lgkmcnt(1)
	v_dot4_i32_iu8 v12, v20, v21, v12 neg_lo:[1,1,0]
	flat_store_b32 v[8:9], v12 offset:128
	flat_load_b32 v12, v[4:5] offset:16
	flat_load_b32 v20, v[6:7] offset:4
	s_waitcnt vmcnt(0) lgkmcnt(0)
	v_dot4_i32_iu8 v12, v12, v20, v13 neg_lo:[1,1,0]
	flat_store_b32 v[8:9], v12 offset:132
	flat_load_b32 v12, v[4:5] offset:16
	flat_load_b32 v13, v[6:7] offset:8
	;; [unrolled: 5-line block ×3, first 2 shown]
	s_waitcnt vmcnt(0) lgkmcnt(0)
	v_dot4_i32_iu8 v12, v12, v13, v15 neg_lo:[1,1,0]
	flat_store_b32 v[8:9], v12 offset:140
	flat_load_b32 v12, v[4:5] offset:20
	flat_load_b32 v13, v[6:7]
	s_waitcnt vmcnt(0) lgkmcnt(0)
	v_dot4_i32_iu8 v12, v12, v13, v16 neg_lo:[1,1,0]
	flat_store_b32 v[8:9], v12 offset:160
	flat_load_b32 v12, v[4:5] offset:20
	flat_load_b32 v13, v[6:7] offset:4
	s_waitcnt vmcnt(0) lgkmcnt(0)
	v_dot4_i32_iu8 v12, v12, v13, v17 neg_lo:[1,1,0]
	flat_store_b32 v[8:9], v12 offset:164
	flat_load_b32 v12, v[4:5] offset:20
	flat_load_b32 v13, v[6:7] offset:8
	;; [unrolled: 5-line block ×3, first 2 shown]
	s_waitcnt vmcnt(0) lgkmcnt(0)
	v_dot4_i32_iu8 v12, v12, v13, v19 neg_lo:[1,1,0]
	flat_store_b32 v[8:9], v12 offset:172
	flat_load_b32 v20, v[4:5] offset:24
	flat_load_b32 v21, v[6:7]
	s_clause 0x1
	flat_load_b128 v[12:15], v[8:9] offset:192
	flat_load_b128 v[16:19], v[8:9] offset:224
	s_waitcnt vmcnt(1) lgkmcnt(1)
	v_dot4_i32_iu8 v12, v20, v21, v12 neg_lo:[1,1,0]
	flat_store_b32 v[8:9], v12 offset:192
	flat_load_b32 v12, v[4:5] offset:24
	flat_load_b32 v20, v[6:7] offset:4
	s_waitcnt vmcnt(0) lgkmcnt(0)
	v_dot4_i32_iu8 v12, v12, v20, v13 neg_lo:[1,1,0]
	flat_store_b32 v[8:9], v12 offset:196
	flat_load_b32 v12, v[4:5] offset:24
	flat_load_b32 v13, v[6:7] offset:8
	;; [unrolled: 5-line block ×3, first 2 shown]
	s_waitcnt vmcnt(0) lgkmcnt(0)
	v_dot4_i32_iu8 v12, v12, v13, v15 neg_lo:[1,1,0]
	flat_store_b32 v[8:9], v12 offset:204
	flat_load_b32 v12, v[4:5] offset:28
	flat_load_b32 v13, v[6:7]
	s_waitcnt vmcnt(0) lgkmcnt(0)
	v_dot4_i32_iu8 v12, v12, v13, v16 neg_lo:[1,1,0]
	flat_store_b32 v[8:9], v12 offset:224
	flat_load_b32 v12, v[4:5] offset:28
	flat_load_b32 v13, v[6:7] offset:4
	s_waitcnt vmcnt(0) lgkmcnt(0)
	v_dot4_i32_iu8 v12, v12, v13, v17 neg_lo:[1,1,0]
	flat_store_b32 v[8:9], v12 offset:228
	flat_load_b32 v12, v[4:5] offset:28
	flat_load_b32 v13, v[6:7] offset:8
	s_waitcnt vmcnt(0) lgkmcnt(0)
	v_dot4_i32_iu8 v12, v12, v13, v18 neg_lo:[1,1,0]
	flat_store_b32 v[8:9], v12 offset:232
	flat_load_b32 v12, v[4:5] offset:28
	flat_load_b32 v13, v[6:7] offset:12
	s_waitcnt vmcnt(0) lgkmcnt(0)
	v_dot4_i32_iu8 v12, v12, v13, v19 neg_lo:[1,1,0]
	flat_store_b32 v[8:9], v12 offset:236
	flat_load_b32 v14, v[0:1] offset:48
	flat_load_b64 v[12:13], v[10:11]
	s_waitcnt vmcnt(1) lgkmcnt(1)
	v_ashrrev_i32_e32 v15, 31, v14
	s_waitcnt vmcnt(0) lgkmcnt(0)
	v_add_co_u32 v12, vcc_lo, v12, v14
	s_delay_alu instid0(VALU_DEP_2) | instskip(NEXT) | instid1(VALU_DEP_2)
	v_add_co_ci_u32_e32 v13, vcc_lo, v13, v15, vcc_lo
	v_add_co_u32 v12, vcc_lo, 0x1000, v12
	s_delay_alu instid0(VALU_DEP_2)
	v_add_co_ci_u32_e32 v13, vcc_lo, 0, v13, vcc_lo
	flat_load_b128 v[12:15], v[12:13]
	flat_load_b32 v20, v[6:7] offset:16
	s_waitcnt vmcnt(1) lgkmcnt(1)
	flat_store_b128 v[6:7], v[12:15]
	flat_load_b32 v21, v[4:5] offset:16
	s_clause 0x1
	flat_load_b128 v[12:15], v[8:9] offset:144
	flat_load_b128 v[16:19], v[8:9] offset:176
	s_waitcnt vmcnt(1) lgkmcnt(1)
	v_dot4_i32_iu8 v12, v21, v20, v12 neg_lo:[1,1,0]
	flat_store_b32 v[8:9], v12 offset:144
	flat_load_b32 v12, v[4:5] offset:16
	flat_load_b32 v20, v[6:7] offset:20
	s_waitcnt vmcnt(0) lgkmcnt(0)
	v_dot4_i32_iu8 v12, v12, v20, v13 neg_lo:[1,1,0]
	flat_store_b32 v[8:9], v12 offset:148
	flat_load_b32 v12, v[4:5] offset:16
	flat_load_b32 v13, v[6:7] offset:24
	;; [unrolled: 5-line block ×8, first 2 shown]
	s_clause 0x1
	flat_load_b128 v[12:15], v[8:9] offset:208
	flat_load_b128 v[16:19], v[8:9] offset:240
	s_waitcnt vmcnt(1) lgkmcnt(1)
	v_dot4_i32_iu8 v12, v20, v21, v12 neg_lo:[1,1,0]
	flat_store_b32 v[8:9], v12 offset:208
	flat_load_b32 v12, v[4:5] offset:24
	flat_load_b32 v20, v[6:7] offset:20
	s_waitcnt vmcnt(0) lgkmcnt(0)
	v_dot4_i32_iu8 v12, v12, v20, v13 neg_lo:[1,1,0]
	flat_store_b32 v[8:9], v12 offset:212
	flat_load_b32 v12, v[4:5] offset:24
	flat_load_b32 v13, v[6:7] offset:24
	;; [unrolled: 5-line block ×7, first 2 shown]
	s_waitcnt vmcnt(0) lgkmcnt(0)
	v_dot4_i32_iu8 v12, v12, v13, v19 neg_lo:[1,1,0]
	flat_store_b32 v[8:9], v12 offset:252
	flat_load_b32 v14, v[0:1] offset:48
	flat_load_b64 v[12:13], v[10:11]
	s_waitcnt vmcnt(1) lgkmcnt(1)
	v_ashrrev_i32_e32 v15, 31, v14
	s_waitcnt vmcnt(0) lgkmcnt(0)
	v_add_co_u32 v12, vcc_lo, v12, v14
	s_delay_alu instid0(VALU_DEP_2) | instskip(NEXT) | instid1(VALU_DEP_2)
	v_add_co_ci_u32_e32 v13, vcc_lo, v13, v15, vcc_lo
	v_add_co_u32 v12, vcc_lo, 0x1000, v12
	s_delay_alu instid0(VALU_DEP_2)
	v_add_co_ci_u32_e32 v13, vcc_lo, 0, v13, vcc_lo
	flat_load_b128 v[12:15], v[12:13] offset:256
	s_waitcnt vmcnt(0) lgkmcnt(0)
	flat_store_b128 v[6:7], v[12:15] offset:16
	flat_load_b32 v14, v[0:1] offset:16
	flat_load_b64 v[12:13], v[2:3]
	s_waitcnt vmcnt(1) lgkmcnt(1)
	v_ashrrev_i32_e32 v15, 31, v14
	s_waitcnt vmcnt(0) lgkmcnt(0)
	v_add_co_u32 v12, vcc_lo, v12, v14
	s_delay_alu instid0(VALU_DEP_2) | instskip(NEXT) | instid1(VALU_DEP_2)
	v_add_co_ci_u32_e32 v13, vcc_lo, v13, v15, vcc_lo
	v_add_co_u32 v12, vcc_lo, 0x1000, v12
	s_delay_alu instid0(VALU_DEP_2)
	v_add_co_ci_u32_e32 v13, vcc_lo, 0, v13, vcc_lo
	flat_load_b128 v[12:15], v[12:13] offset:256
	flat_load_b32 v20, v[4:5]
	s_waitcnt vmcnt(1) lgkmcnt(1)
	flat_store_b128 v[4:5], v[12:15] offset:16
	flat_load_b32 v21, v[6:7]
	s_clause 0x1
	flat_load_b128 v[12:15], v[8:9]
	flat_load_b128 v[16:19], v[8:9] offset:16
	s_waitcnt vmcnt(1) lgkmcnt(1)
	v_dot4_i32_iu8 v12, v20, v21, v12 neg_lo:[1,1,0]
	flat_store_b32 v[8:9], v12
	flat_load_b32 v12, v[4:5]
	flat_load_b32 v20, v[6:7] offset:4
	s_waitcnt vmcnt(0) lgkmcnt(0)
	v_dot4_i32_iu8 v12, v12, v20, v13 neg_lo:[1,1,0]
	flat_store_b32 v[8:9], v12 offset:4
	flat_load_b32 v12, v[4:5]
	flat_load_b32 v13, v[6:7] offset:8
	s_waitcnt vmcnt(0) lgkmcnt(0)
	v_dot4_i32_iu8 v12, v12, v13, v14 neg_lo:[1,1,0]
	flat_store_b32 v[8:9], v12 offset:8
	;; [unrolled: 5-line block ×3, first 2 shown]
	flat_load_b32 v24, v[4:5] offset:4
	flat_load_b32 v25, v[6:7]
	s_clause 0x1
	flat_load_b128 v[12:15], v[8:9] offset:32
	flat_load_b128 v[20:23], v[8:9] offset:48
	s_waitcnt vmcnt(1) lgkmcnt(1)
	v_dot4_i32_iu8 v12, v24, v25, v12 neg_lo:[1,1,0]
	flat_store_b32 v[8:9], v12 offset:32
	flat_load_b32 v12, v[4:5] offset:4
	flat_load_b32 v24, v[6:7] offset:4
	s_waitcnt vmcnt(0) lgkmcnt(0)
	v_dot4_i32_iu8 v12, v12, v24, v13 neg_lo:[1,1,0]
	flat_store_b32 v[8:9], v12 offset:36
	flat_load_b32 v12, v[4:5] offset:4
	flat_load_b32 v13, v[6:7] offset:8
	s_waitcnt vmcnt(0) lgkmcnt(0)
	v_dot4_i32_iu8 v12, v12, v13, v14 neg_lo:[1,1,0]
	flat_store_b32 v[8:9], v12 offset:40
	flat_load_b32 v12, v[4:5] offset:4
	flat_load_b32 v13, v[6:7] offset:12
	s_waitcnt vmcnt(0) lgkmcnt(0)
	v_dot4_i32_iu8 v12, v12, v13, v15 neg_lo:[1,1,0]
	flat_store_b32 v[8:9], v12 offset:44
	flat_load_b32 v28, v[4:5] offset:8
	flat_load_b32 v29, v[6:7]
	s_clause 0x1
	flat_load_b128 v[12:15], v[8:9] offset:64
	flat_load_b128 v[24:27], v[8:9] offset:80
	s_waitcnt vmcnt(1) lgkmcnt(1)
	v_dot4_i32_iu8 v12, v28, v29, v12 neg_lo:[1,1,0]
	flat_store_b32 v[8:9], v12 offset:64
	flat_load_b32 v12, v[4:5] offset:8
	flat_load_b32 v28, v[6:7] offset:4
	s_waitcnt vmcnt(0) lgkmcnt(0)
	v_dot4_i32_iu8 v12, v12, v28, v13 neg_lo:[1,1,0]
	flat_store_b32 v[8:9], v12 offset:68
	flat_load_b32 v12, v[4:5] offset:8
	flat_load_b32 v13, v[6:7] offset:8
	s_waitcnt vmcnt(0) lgkmcnt(0)
	v_dot4_i32_iu8 v12, v12, v13, v14 neg_lo:[1,1,0]
	flat_store_b32 v[8:9], v12 offset:72
	flat_load_b32 v12, v[4:5] offset:8
	flat_load_b32 v13, v[6:7] offset:12
	s_waitcnt vmcnt(0) lgkmcnt(0)
	v_dot4_i32_iu8 v12, v12, v13, v15 neg_lo:[1,1,0]
	flat_store_b32 v[8:9], v12 offset:76
	;; [unrolled: 23-line block ×3, first 2 shown]
	flat_load_b32 v12, v[4:5]
	flat_load_b32 v13, v[6:7] offset:16
	s_waitcnt vmcnt(0) lgkmcnt(0)
	v_dot4_i32_iu8 v12, v12, v13, v16 neg_lo:[1,1,0]
	flat_store_b32 v[8:9], v12 offset:16
	flat_load_b32 v12, v[4:5]
	flat_load_b32 v13, v[6:7] offset:20
	s_waitcnt vmcnt(0) lgkmcnt(0)
	v_dot4_i32_iu8 v12, v12, v13, v17 neg_lo:[1,1,0]
	flat_store_b32 v[8:9], v12 offset:20
	;; [unrolled: 5-line block ×4, first 2 shown]
	flat_load_b32 v12, v[4:5] offset:4
	flat_load_b32 v13, v[6:7] offset:16
	s_waitcnt vmcnt(0) lgkmcnt(0)
	v_dot4_i32_iu8 v12, v12, v13, v20 neg_lo:[1,1,0]
	flat_store_b32 v[8:9], v12 offset:48
	flat_load_b32 v12, v[4:5] offset:4
	flat_load_b32 v13, v[6:7] offset:20
	s_waitcnt vmcnt(0) lgkmcnt(0)
	v_dot4_i32_iu8 v12, v12, v13, v21 neg_lo:[1,1,0]
	flat_store_b32 v[8:9], v12 offset:52
	;; [unrolled: 5-line block ×12, first 2 shown]
	flat_load_b32 v14, v[0:1] offset:16
	flat_load_b64 v[12:13], v[2:3]
	s_waitcnt vmcnt(1) lgkmcnt(1)
	v_ashrrev_i32_e32 v15, 31, v14
	s_waitcnt vmcnt(0) lgkmcnt(0)
	v_add_co_u32 v12, vcc_lo, v12, v14
	s_delay_alu instid0(VALU_DEP_2) | instskip(NEXT) | instid1(VALU_DEP_2)
	v_add_co_ci_u32_e32 v13, vcc_lo, v13, v15, vcc_lo
	v_add_co_u32 v12, vcc_lo, 0x1000, v12
	s_delay_alu instid0(VALU_DEP_2)
	v_add_co_ci_u32_e32 v13, vcc_lo, 0, v13, vcc_lo
	flat_load_b128 v[12:15], v[12:13] offset:512
	flat_load_b32 v20, v[4:5] offset:16
	s_waitcnt vmcnt(1) lgkmcnt(1)
	flat_store_b128 v[4:5], v[12:15]
	flat_load_b32 v21, v[6:7]
	s_clause 0x1
	flat_load_b128 v[12:15], v[8:9] offset:128
	flat_load_b128 v[16:19], v[8:9] offset:160
	s_waitcnt vmcnt(1) lgkmcnt(1)
	v_dot4_i32_iu8 v12, v20, v21, v12 neg_lo:[1,1,0]
	flat_store_b32 v[8:9], v12 offset:128
	flat_load_b32 v12, v[4:5] offset:16
	flat_load_b32 v20, v[6:7] offset:4
	s_waitcnt vmcnt(0) lgkmcnt(0)
	v_dot4_i32_iu8 v12, v12, v20, v13 neg_lo:[1,1,0]
	flat_store_b32 v[8:9], v12 offset:132
	flat_load_b32 v12, v[4:5] offset:16
	flat_load_b32 v13, v[6:7] offset:8
	s_waitcnt vmcnt(0) lgkmcnt(0)
	v_dot4_i32_iu8 v12, v12, v13, v14 neg_lo:[1,1,0]
	flat_store_b32 v[8:9], v12 offset:136
	flat_load_b32 v12, v[4:5] offset:16
	flat_load_b32 v13, v[6:7] offset:12
	s_waitcnt vmcnt(0) lgkmcnt(0)
	v_dot4_i32_iu8 v12, v12, v13, v15 neg_lo:[1,1,0]
	flat_store_b32 v[8:9], v12 offset:140
	flat_load_b32 v12, v[4:5] offset:20
	flat_load_b32 v13, v[6:7]
	s_waitcnt vmcnt(0) lgkmcnt(0)
	v_dot4_i32_iu8 v12, v12, v13, v16 neg_lo:[1,1,0]
	flat_store_b32 v[8:9], v12 offset:160
	flat_load_b32 v12, v[4:5] offset:20
	flat_load_b32 v13, v[6:7] offset:4
	s_waitcnt vmcnt(0) lgkmcnt(0)
	v_dot4_i32_iu8 v12, v12, v13, v17 neg_lo:[1,1,0]
	flat_store_b32 v[8:9], v12 offset:164
	flat_load_b32 v12, v[4:5] offset:20
	flat_load_b32 v13, v[6:7] offset:8
	;; [unrolled: 5-line block ×3, first 2 shown]
	s_waitcnt vmcnt(0) lgkmcnt(0)
	v_dot4_i32_iu8 v12, v12, v13, v19 neg_lo:[1,1,0]
	flat_store_b32 v[8:9], v12 offset:172
	flat_load_b32 v20, v[4:5] offset:24
	flat_load_b32 v21, v[6:7]
	s_clause 0x1
	flat_load_b128 v[12:15], v[8:9] offset:192
	flat_load_b128 v[16:19], v[8:9] offset:224
	s_waitcnt vmcnt(1) lgkmcnt(1)
	v_dot4_i32_iu8 v12, v20, v21, v12 neg_lo:[1,1,0]
	flat_store_b32 v[8:9], v12 offset:192
	flat_load_b32 v12, v[4:5] offset:24
	flat_load_b32 v20, v[6:7] offset:4
	s_waitcnt vmcnt(0) lgkmcnt(0)
	v_dot4_i32_iu8 v12, v12, v20, v13 neg_lo:[1,1,0]
	flat_store_b32 v[8:9], v12 offset:196
	flat_load_b32 v12, v[4:5] offset:24
	flat_load_b32 v13, v[6:7] offset:8
	;; [unrolled: 5-line block ×3, first 2 shown]
	s_waitcnt vmcnt(0) lgkmcnt(0)
	v_dot4_i32_iu8 v12, v12, v13, v15 neg_lo:[1,1,0]
	flat_store_b32 v[8:9], v12 offset:204
	flat_load_b32 v12, v[4:5] offset:28
	flat_load_b32 v13, v[6:7]
	s_waitcnt vmcnt(0) lgkmcnt(0)
	v_dot4_i32_iu8 v12, v12, v13, v16 neg_lo:[1,1,0]
	flat_store_b32 v[8:9], v12 offset:224
	flat_load_b32 v12, v[4:5] offset:28
	flat_load_b32 v13, v[6:7] offset:4
	s_waitcnt vmcnt(0) lgkmcnt(0)
	v_dot4_i32_iu8 v12, v12, v13, v17 neg_lo:[1,1,0]
	flat_store_b32 v[8:9], v12 offset:228
	flat_load_b32 v12, v[4:5] offset:28
	flat_load_b32 v13, v[6:7] offset:8
	s_waitcnt vmcnt(0) lgkmcnt(0)
	v_dot4_i32_iu8 v12, v12, v13, v18 neg_lo:[1,1,0]
	flat_store_b32 v[8:9], v12 offset:232
	flat_load_b32 v12, v[4:5] offset:28
	flat_load_b32 v13, v[6:7] offset:12
	s_waitcnt vmcnt(0) lgkmcnt(0)
	v_dot4_i32_iu8 v12, v12, v13, v19 neg_lo:[1,1,0]
	flat_store_b32 v[8:9], v12 offset:236
	flat_load_b32 v14, v[0:1] offset:48
	flat_load_b64 v[12:13], v[10:11]
	s_waitcnt vmcnt(1) lgkmcnt(1)
	v_ashrrev_i32_e32 v15, 31, v14
	s_waitcnt vmcnt(0) lgkmcnt(0)
	v_add_co_u32 v12, vcc_lo, v12, v14
	s_delay_alu instid0(VALU_DEP_2) | instskip(NEXT) | instid1(VALU_DEP_2)
	v_add_co_ci_u32_e32 v13, vcc_lo, v13, v15, vcc_lo
	v_add_co_u32 v12, vcc_lo, 0x1000, v12
	s_delay_alu instid0(VALU_DEP_2)
	v_add_co_ci_u32_e32 v13, vcc_lo, 0, v13, vcc_lo
	flat_load_b128 v[12:15], v[12:13] offset:512
	flat_load_b32 v16, v[6:7] offset:16
	s_waitcnt vmcnt(1) lgkmcnt(1)
	flat_store_b128 v[6:7], v[12:15]
	flat_load_b32 v17, v[4:5] offset:16
	flat_load_b128 v[12:15], v[8:9] offset:144
	s_waitcnt vmcnt(0) lgkmcnt(0)
	v_dot4_i32_iu8 v12, v17, v16, v12 neg_lo:[1,1,0]
	flat_store_b32 v[8:9], v12 offset:144
	flat_load_b32 v12, v[4:5] offset:16
	flat_load_b32 v16, v[6:7] offset:20
	s_waitcnt vmcnt(0) lgkmcnt(0)
	v_dot4_i32_iu8 v12, v12, v16, v13 neg_lo:[1,1,0]
	flat_store_b32 v[8:9], v12 offset:148
	flat_load_b32 v12, v[4:5] offset:16
	flat_load_b32 v13, v[6:7] offset:24
	flat_load_b128 v[16:19], v[8:9] offset:176
	s_waitcnt vmcnt(1) lgkmcnt(1)
	v_dot4_i32_iu8 v12, v12, v13, v14 neg_lo:[1,1,0]
	flat_store_b32 v[8:9], v12 offset:152
	flat_load_b32 v12, v[4:5] offset:16
	flat_load_b32 v13, v[6:7] offset:28
	s_waitcnt vmcnt(0) lgkmcnt(0)
	v_dot4_i32_iu8 v12, v12, v13, v15 neg_lo:[1,1,0]
	flat_store_b32 v[8:9], v12 offset:156
	flat_load_b32 v12, v[4:5] offset:20
	flat_load_b32 v13, v[6:7] offset:16
	;; [unrolled: 5-line block ×6, first 2 shown]
	s_clause 0x1
	flat_load_b128 v[12:15], v[8:9] offset:208
	flat_load_b128 v[16:19], v[8:9] offset:240
	s_waitcnt vmcnt(1) lgkmcnt(1)
	v_dot4_i32_iu8 v12, v20, v21, v12 neg_lo:[1,1,0]
	flat_store_b32 v[8:9], v12 offset:208
	flat_load_b32 v12, v[4:5] offset:24
	flat_load_b32 v20, v[6:7] offset:20
	s_waitcnt vmcnt(0) lgkmcnt(0)
	v_dot4_i32_iu8 v12, v12, v20, v13 neg_lo:[1,1,0]
	flat_store_b32 v[8:9], v12 offset:212
	flat_load_b32 v12, v[4:5] offset:24
	flat_load_b32 v13, v[6:7] offset:24
	;; [unrolled: 5-line block ×7, first 2 shown]
	s_waitcnt vmcnt(0) lgkmcnt(0)
	v_dot4_i32_iu8 v12, v12, v13, v19 neg_lo:[1,1,0]
	flat_store_b32 v[8:9], v12 offset:252
	flat_load_b32 v14, v[0:1] offset:48
	flat_load_b64 v[12:13], v[10:11]
	s_waitcnt vmcnt(1) lgkmcnt(1)
	v_ashrrev_i32_e32 v15, 31, v14
	s_waitcnt vmcnt(0) lgkmcnt(0)
	v_add_co_u32 v12, vcc_lo, v12, v14
	s_delay_alu instid0(VALU_DEP_2) | instskip(NEXT) | instid1(VALU_DEP_2)
	v_add_co_ci_u32_e32 v13, vcc_lo, v13, v15, vcc_lo
	v_add_co_u32 v12, vcc_lo, 0x1000, v12
	s_delay_alu instid0(VALU_DEP_2)
	v_add_co_ci_u32_e32 v13, vcc_lo, 0, v13, vcc_lo
	flat_load_b128 v[12:15], v[12:13] offset:768
	s_waitcnt vmcnt(0) lgkmcnt(0)
	flat_store_b128 v[6:7], v[12:15] offset:16
	flat_load_b32 v14, v[0:1] offset:16
	flat_load_b64 v[12:13], v[2:3]
	s_waitcnt vmcnt(1) lgkmcnt(1)
	v_ashrrev_i32_e32 v15, 31, v14
	s_waitcnt vmcnt(0) lgkmcnt(0)
	v_add_co_u32 v12, vcc_lo, v12, v14
	s_delay_alu instid0(VALU_DEP_2) | instskip(NEXT) | instid1(VALU_DEP_2)
	v_add_co_ci_u32_e32 v13, vcc_lo, v13, v15, vcc_lo
	v_add_co_u32 v12, vcc_lo, 0x1000, v12
	s_delay_alu instid0(VALU_DEP_2)
	v_add_co_ci_u32_e32 v13, vcc_lo, 0, v13, vcc_lo
	flat_load_b128 v[12:15], v[12:13] offset:768
	flat_load_b32 v20, v[4:5]
	s_waitcnt vmcnt(1) lgkmcnt(1)
	flat_store_b128 v[4:5], v[12:15] offset:16
	flat_load_b32 v21, v[6:7]
	s_clause 0x1
	flat_load_b128 v[12:15], v[8:9]
	flat_load_b128 v[16:19], v[8:9] offset:16
	s_waitcnt vmcnt(1) lgkmcnt(1)
	v_dot4_i32_iu8 v12, v20, v21, v12 neg_lo:[1,1,0]
	flat_store_b32 v[8:9], v12
	flat_load_b32 v12, v[4:5]
	flat_load_b32 v20, v[6:7] offset:4
	s_waitcnt vmcnt(0) lgkmcnt(0)
	v_dot4_i32_iu8 v12, v12, v20, v13 neg_lo:[1,1,0]
	flat_store_b32 v[8:9], v12 offset:4
	flat_load_b32 v12, v[4:5]
	flat_load_b32 v13, v[6:7] offset:8
	s_waitcnt vmcnt(0) lgkmcnt(0)
	v_dot4_i32_iu8 v12, v12, v13, v14 neg_lo:[1,1,0]
	flat_store_b32 v[8:9], v12 offset:8
	;; [unrolled: 5-line block ×3, first 2 shown]
	flat_load_b32 v24, v[4:5] offset:4
	flat_load_b32 v25, v[6:7]
	s_clause 0x1
	flat_load_b128 v[12:15], v[8:9] offset:32
	flat_load_b128 v[20:23], v[8:9] offset:48
	s_waitcnt vmcnt(1) lgkmcnt(1)
	v_dot4_i32_iu8 v12, v24, v25, v12 neg_lo:[1,1,0]
	flat_store_b32 v[8:9], v12 offset:32
	flat_load_b32 v12, v[4:5] offset:4
	flat_load_b32 v24, v[6:7] offset:4
	s_waitcnt vmcnt(0) lgkmcnt(0)
	v_dot4_i32_iu8 v12, v12, v24, v13 neg_lo:[1,1,0]
	flat_store_b32 v[8:9], v12 offset:36
	flat_load_b32 v12, v[4:5] offset:4
	flat_load_b32 v13, v[6:7] offset:8
	s_waitcnt vmcnt(0) lgkmcnt(0)
	v_dot4_i32_iu8 v12, v12, v13, v14 neg_lo:[1,1,0]
	flat_store_b32 v[8:9], v12 offset:40
	flat_load_b32 v12, v[4:5] offset:4
	flat_load_b32 v13, v[6:7] offset:12
	s_waitcnt vmcnt(0) lgkmcnt(0)
	v_dot4_i32_iu8 v12, v12, v13, v15 neg_lo:[1,1,0]
	flat_store_b32 v[8:9], v12 offset:44
	flat_load_b32 v28, v[4:5] offset:8
	flat_load_b32 v29, v[6:7]
	s_clause 0x1
	flat_load_b128 v[12:15], v[8:9] offset:64
	flat_load_b128 v[24:27], v[8:9] offset:80
	s_waitcnt vmcnt(1) lgkmcnt(1)
	v_dot4_i32_iu8 v12, v28, v29, v12 neg_lo:[1,1,0]
	flat_store_b32 v[8:9], v12 offset:64
	flat_load_b32 v12, v[4:5] offset:8
	flat_load_b32 v28, v[6:7] offset:4
	s_waitcnt vmcnt(0) lgkmcnt(0)
	v_dot4_i32_iu8 v12, v12, v28, v13 neg_lo:[1,1,0]
	flat_store_b32 v[8:9], v12 offset:68
	flat_load_b32 v12, v[4:5] offset:8
	flat_load_b32 v13, v[6:7] offset:8
	s_waitcnt vmcnt(0) lgkmcnt(0)
	v_dot4_i32_iu8 v12, v12, v13, v14 neg_lo:[1,1,0]
	flat_store_b32 v[8:9], v12 offset:72
	flat_load_b32 v12, v[4:5] offset:8
	flat_load_b32 v13, v[6:7] offset:12
	s_waitcnt vmcnt(0) lgkmcnt(0)
	v_dot4_i32_iu8 v12, v12, v13, v15 neg_lo:[1,1,0]
	flat_store_b32 v[8:9], v12 offset:76
	;; [unrolled: 23-line block ×3, first 2 shown]
	flat_load_b32 v12, v[4:5]
	flat_load_b32 v13, v[6:7] offset:16
	s_waitcnt vmcnt(0) lgkmcnt(0)
	v_dot4_i32_iu8 v12, v12, v13, v16 neg_lo:[1,1,0]
	flat_store_b32 v[8:9], v12 offset:16
	flat_load_b32 v12, v[4:5]
	flat_load_b32 v13, v[6:7] offset:20
	s_waitcnt vmcnt(0) lgkmcnt(0)
	v_dot4_i32_iu8 v12, v12, v13, v17 neg_lo:[1,1,0]
	flat_store_b32 v[8:9], v12 offset:20
	;; [unrolled: 5-line block ×4, first 2 shown]
	flat_load_b32 v12, v[4:5] offset:4
	flat_load_b32 v13, v[6:7] offset:16
	s_waitcnt vmcnt(0) lgkmcnt(0)
	v_dot4_i32_iu8 v12, v12, v13, v20 neg_lo:[1,1,0]
	flat_store_b32 v[8:9], v12 offset:48
	flat_load_b32 v12, v[4:5] offset:4
	flat_load_b32 v13, v[6:7] offset:20
	s_waitcnt vmcnt(0) lgkmcnt(0)
	v_dot4_i32_iu8 v12, v12, v13, v21 neg_lo:[1,1,0]
	flat_store_b32 v[8:9], v12 offset:52
	;; [unrolled: 5-line block ×12, first 2 shown]
	flat_load_b32 v14, v[0:1] offset:16
	flat_load_b64 v[12:13], v[2:3]
	s_waitcnt vmcnt(1) lgkmcnt(1)
	v_ashrrev_i32_e32 v15, 31, v14
	s_waitcnt vmcnt(0) lgkmcnt(0)
	v_add_co_u32 v12, vcc_lo, v12, v14
	s_delay_alu instid0(VALU_DEP_2) | instskip(NEXT) | instid1(VALU_DEP_2)
	v_add_co_ci_u32_e32 v13, vcc_lo, v13, v15, vcc_lo
	v_add_co_u32 v12, vcc_lo, 0x1000, v12
	s_delay_alu instid0(VALU_DEP_2)
	v_add_co_ci_u32_e32 v13, vcc_lo, 0, v13, vcc_lo
	flat_load_b128 v[12:15], v[12:13] offset:1024
	flat_load_b32 v20, v[4:5] offset:16
	s_waitcnt vmcnt(1) lgkmcnt(1)
	flat_store_b128 v[4:5], v[12:15]
	flat_load_b32 v21, v[6:7]
	s_clause 0x1
	flat_load_b128 v[12:15], v[8:9] offset:128
	flat_load_b128 v[16:19], v[8:9] offset:160
	s_waitcnt vmcnt(1) lgkmcnt(1)
	v_dot4_i32_iu8 v12, v20, v21, v12 neg_lo:[1,1,0]
	flat_store_b32 v[8:9], v12 offset:128
	flat_load_b32 v12, v[4:5] offset:16
	flat_load_b32 v20, v[6:7] offset:4
	s_waitcnt vmcnt(0) lgkmcnt(0)
	v_dot4_i32_iu8 v12, v12, v20, v13 neg_lo:[1,1,0]
	flat_store_b32 v[8:9], v12 offset:132
	flat_load_b32 v12, v[4:5] offset:16
	flat_load_b32 v13, v[6:7] offset:8
	;; [unrolled: 5-line block ×3, first 2 shown]
	s_waitcnt vmcnt(0) lgkmcnt(0)
	v_dot4_i32_iu8 v12, v12, v13, v15 neg_lo:[1,1,0]
	flat_store_b32 v[8:9], v12 offset:140
	flat_load_b32 v12, v[4:5] offset:20
	flat_load_b32 v13, v[6:7]
	s_waitcnt vmcnt(0) lgkmcnt(0)
	v_dot4_i32_iu8 v12, v12, v13, v16 neg_lo:[1,1,0]
	flat_store_b32 v[8:9], v12 offset:160
	flat_load_b32 v12, v[4:5] offset:20
	flat_load_b32 v13, v[6:7] offset:4
	s_waitcnt vmcnt(0) lgkmcnt(0)
	v_dot4_i32_iu8 v12, v12, v13, v17 neg_lo:[1,1,0]
	flat_store_b32 v[8:9], v12 offset:164
	flat_load_b32 v12, v[4:5] offset:20
	flat_load_b32 v13, v[6:7] offset:8
	;; [unrolled: 5-line block ×3, first 2 shown]
	s_waitcnt vmcnt(0) lgkmcnt(0)
	v_dot4_i32_iu8 v12, v12, v13, v19 neg_lo:[1,1,0]
	flat_store_b32 v[8:9], v12 offset:172
	flat_load_b32 v20, v[4:5] offset:24
	flat_load_b32 v21, v[6:7]
	s_clause 0x1
	flat_load_b128 v[12:15], v[8:9] offset:192
	flat_load_b128 v[16:19], v[8:9] offset:224
	s_waitcnt vmcnt(1) lgkmcnt(1)
	v_dot4_i32_iu8 v12, v20, v21, v12 neg_lo:[1,1,0]
	flat_store_b32 v[8:9], v12 offset:192
	flat_load_b32 v12, v[4:5] offset:24
	flat_load_b32 v20, v[6:7] offset:4
	s_waitcnt vmcnt(0) lgkmcnt(0)
	v_dot4_i32_iu8 v12, v12, v20, v13 neg_lo:[1,1,0]
	flat_store_b32 v[8:9], v12 offset:196
	flat_load_b32 v12, v[4:5] offset:24
	flat_load_b32 v13, v[6:7] offset:8
	;; [unrolled: 5-line block ×3, first 2 shown]
	s_waitcnt vmcnt(0) lgkmcnt(0)
	v_dot4_i32_iu8 v12, v12, v13, v15 neg_lo:[1,1,0]
	flat_store_b32 v[8:9], v12 offset:204
	flat_load_b32 v12, v[4:5] offset:28
	flat_load_b32 v13, v[6:7]
	s_waitcnt vmcnt(0) lgkmcnt(0)
	v_dot4_i32_iu8 v12, v12, v13, v16 neg_lo:[1,1,0]
	flat_store_b32 v[8:9], v12 offset:224
	flat_load_b32 v12, v[4:5] offset:28
	flat_load_b32 v13, v[6:7] offset:4
	s_waitcnt vmcnt(0) lgkmcnt(0)
	v_dot4_i32_iu8 v12, v12, v13, v17 neg_lo:[1,1,0]
	flat_store_b32 v[8:9], v12 offset:228
	flat_load_b32 v12, v[4:5] offset:28
	flat_load_b32 v13, v[6:7] offset:8
	;; [unrolled: 5-line block ×3, first 2 shown]
	s_waitcnt vmcnt(0) lgkmcnt(0)
	v_dot4_i32_iu8 v12, v12, v13, v19 neg_lo:[1,1,0]
	flat_store_b32 v[8:9], v12 offset:236
	flat_load_b32 v14, v[0:1] offset:48
	flat_load_b64 v[12:13], v[10:11]
	s_waitcnt vmcnt(1) lgkmcnt(1)
	v_ashrrev_i32_e32 v15, 31, v14
	s_waitcnt vmcnt(0) lgkmcnt(0)
	v_add_co_u32 v12, vcc_lo, v12, v14
	s_delay_alu instid0(VALU_DEP_2) | instskip(NEXT) | instid1(VALU_DEP_2)
	v_add_co_ci_u32_e32 v13, vcc_lo, v13, v15, vcc_lo
	v_add_co_u32 v12, vcc_lo, 0x1000, v12
	s_delay_alu instid0(VALU_DEP_2)
	v_add_co_ci_u32_e32 v13, vcc_lo, 0, v13, vcc_lo
	flat_load_b128 v[12:15], v[12:13] offset:1024
	flat_load_b32 v20, v[6:7] offset:16
	s_waitcnt vmcnt(1) lgkmcnt(1)
	flat_store_b128 v[6:7], v[12:15]
	flat_load_b32 v21, v[4:5] offset:16
	s_clause 0x1
	flat_load_b128 v[12:15], v[8:9] offset:144
	flat_load_b128 v[16:19], v[8:9] offset:176
	s_waitcnt vmcnt(1) lgkmcnt(1)
	v_dot4_i32_iu8 v12, v21, v20, v12 neg_lo:[1,1,0]
	flat_store_b32 v[8:9], v12 offset:144
	flat_load_b32 v12, v[4:5] offset:16
	flat_load_b32 v20, v[6:7] offset:20
	s_waitcnt vmcnt(0) lgkmcnt(0)
	v_dot4_i32_iu8 v12, v12, v20, v13 neg_lo:[1,1,0]
	flat_store_b32 v[8:9], v12 offset:148
	flat_load_b32 v12, v[4:5] offset:16
	flat_load_b32 v13, v[6:7] offset:24
	;; [unrolled: 5-line block ×8, first 2 shown]
	s_clause 0x1
	flat_load_b128 v[12:15], v[8:9] offset:208
	flat_load_b128 v[16:19], v[8:9] offset:240
	s_waitcnt vmcnt(1) lgkmcnt(1)
	v_dot4_i32_iu8 v12, v20, v21, v12 neg_lo:[1,1,0]
	flat_store_b32 v[8:9], v12 offset:208
	flat_load_b32 v12, v[4:5] offset:24
	flat_load_b32 v20, v[6:7] offset:20
	s_waitcnt vmcnt(0) lgkmcnt(0)
	v_dot4_i32_iu8 v12, v12, v20, v13 neg_lo:[1,1,0]
	flat_store_b32 v[8:9], v12 offset:212
	flat_load_b32 v12, v[4:5] offset:24
	flat_load_b32 v13, v[6:7] offset:24
	;; [unrolled: 5-line block ×7, first 2 shown]
	s_waitcnt vmcnt(0) lgkmcnt(0)
	v_dot4_i32_iu8 v12, v12, v13, v19 neg_lo:[1,1,0]
	flat_store_b32 v[8:9], v12 offset:252
	flat_load_b32 v14, v[0:1] offset:48
	flat_load_b64 v[12:13], v[10:11]
	s_waitcnt vmcnt(1) lgkmcnt(1)
	v_ashrrev_i32_e32 v15, 31, v14
	s_waitcnt vmcnt(0) lgkmcnt(0)
	v_add_co_u32 v12, vcc_lo, v12, v14
	s_delay_alu instid0(VALU_DEP_2) | instskip(NEXT) | instid1(VALU_DEP_2)
	v_add_co_ci_u32_e32 v13, vcc_lo, v13, v15, vcc_lo
	v_add_co_u32 v12, vcc_lo, 0x1000, v12
	s_delay_alu instid0(VALU_DEP_2)
	v_add_co_ci_u32_e32 v13, vcc_lo, 0, v13, vcc_lo
	flat_load_b128 v[12:15], v[12:13] offset:1280
	s_waitcnt vmcnt(0) lgkmcnt(0)
	flat_store_b128 v[6:7], v[12:15] offset:16
	flat_load_b32 v14, v[0:1] offset:16
	flat_load_b64 v[12:13], v[2:3]
	s_waitcnt vmcnt(1) lgkmcnt(1)
	v_ashrrev_i32_e32 v15, 31, v14
	s_waitcnt vmcnt(0) lgkmcnt(0)
	v_add_co_u32 v12, vcc_lo, v12, v14
	s_delay_alu instid0(VALU_DEP_2) | instskip(NEXT) | instid1(VALU_DEP_2)
	v_add_co_ci_u32_e32 v13, vcc_lo, v13, v15, vcc_lo
	v_add_co_u32 v12, vcc_lo, 0x1000, v12
	s_delay_alu instid0(VALU_DEP_2)
	v_add_co_ci_u32_e32 v13, vcc_lo, 0, v13, vcc_lo
	flat_load_b128 v[12:15], v[12:13] offset:1280
	flat_load_b32 v20, v[4:5]
	s_waitcnt vmcnt(1) lgkmcnt(1)
	flat_store_b128 v[4:5], v[12:15] offset:16
	flat_load_b32 v21, v[6:7]
	s_clause 0x1
	flat_load_b128 v[12:15], v[8:9]
	flat_load_b128 v[16:19], v[8:9] offset:16
	s_waitcnt vmcnt(1) lgkmcnt(1)
	v_dot4_i32_iu8 v12, v20, v21, v12 neg_lo:[1,1,0]
	flat_store_b32 v[8:9], v12
	flat_load_b32 v12, v[4:5]
	flat_load_b32 v20, v[6:7] offset:4
	s_waitcnt vmcnt(0) lgkmcnt(0)
	v_dot4_i32_iu8 v12, v12, v20, v13 neg_lo:[1,1,0]
	flat_store_b32 v[8:9], v12 offset:4
	flat_load_b32 v12, v[4:5]
	flat_load_b32 v13, v[6:7] offset:8
	s_waitcnt vmcnt(0) lgkmcnt(0)
	v_dot4_i32_iu8 v12, v12, v13, v14 neg_lo:[1,1,0]
	flat_store_b32 v[8:9], v12 offset:8
	;; [unrolled: 5-line block ×3, first 2 shown]
	flat_load_b32 v24, v[4:5] offset:4
	flat_load_b32 v25, v[6:7]
	s_clause 0x1
	flat_load_b128 v[12:15], v[8:9] offset:32
	flat_load_b128 v[20:23], v[8:9] offset:48
	s_waitcnt vmcnt(1) lgkmcnt(1)
	v_dot4_i32_iu8 v12, v24, v25, v12 neg_lo:[1,1,0]
	flat_store_b32 v[8:9], v12 offset:32
	flat_load_b32 v12, v[4:5] offset:4
	flat_load_b32 v24, v[6:7] offset:4
	s_waitcnt vmcnt(0) lgkmcnt(0)
	v_dot4_i32_iu8 v12, v12, v24, v13 neg_lo:[1,1,0]
	flat_store_b32 v[8:9], v12 offset:36
	flat_load_b32 v12, v[4:5] offset:4
	flat_load_b32 v13, v[6:7] offset:8
	s_waitcnt vmcnt(0) lgkmcnt(0)
	v_dot4_i32_iu8 v12, v12, v13, v14 neg_lo:[1,1,0]
	flat_store_b32 v[8:9], v12 offset:40
	flat_load_b32 v12, v[4:5] offset:4
	flat_load_b32 v13, v[6:7] offset:12
	s_waitcnt vmcnt(0) lgkmcnt(0)
	v_dot4_i32_iu8 v12, v12, v13, v15 neg_lo:[1,1,0]
	flat_store_b32 v[8:9], v12 offset:44
	flat_load_b32 v28, v[4:5] offset:8
	flat_load_b32 v29, v[6:7]
	s_clause 0x1
	flat_load_b128 v[12:15], v[8:9] offset:64
	flat_load_b128 v[24:27], v[8:9] offset:80
	s_waitcnt vmcnt(1) lgkmcnt(1)
	v_dot4_i32_iu8 v12, v28, v29, v12 neg_lo:[1,1,0]
	flat_store_b32 v[8:9], v12 offset:64
	flat_load_b32 v12, v[4:5] offset:8
	flat_load_b32 v28, v[6:7] offset:4
	s_waitcnt vmcnt(0) lgkmcnt(0)
	v_dot4_i32_iu8 v12, v12, v28, v13 neg_lo:[1,1,0]
	flat_store_b32 v[8:9], v12 offset:68
	flat_load_b32 v12, v[4:5] offset:8
	flat_load_b32 v13, v[6:7] offset:8
	s_waitcnt vmcnt(0) lgkmcnt(0)
	v_dot4_i32_iu8 v12, v12, v13, v14 neg_lo:[1,1,0]
	flat_store_b32 v[8:9], v12 offset:72
	flat_load_b32 v12, v[4:5] offset:8
	flat_load_b32 v13, v[6:7] offset:12
	s_waitcnt vmcnt(0) lgkmcnt(0)
	v_dot4_i32_iu8 v12, v12, v13, v15 neg_lo:[1,1,0]
	flat_store_b32 v[8:9], v12 offset:76
	;; [unrolled: 23-line block ×3, first 2 shown]
	flat_load_b32 v12, v[4:5]
	flat_load_b32 v13, v[6:7] offset:16
	s_waitcnt vmcnt(0) lgkmcnt(0)
	v_dot4_i32_iu8 v12, v12, v13, v16 neg_lo:[1,1,0]
	flat_store_b32 v[8:9], v12 offset:16
	flat_load_b32 v12, v[4:5]
	flat_load_b32 v13, v[6:7] offset:20
	s_waitcnt vmcnt(0) lgkmcnt(0)
	v_dot4_i32_iu8 v12, v12, v13, v17 neg_lo:[1,1,0]
	flat_store_b32 v[8:9], v12 offset:20
	flat_load_b32 v12, v[4:5]
	flat_load_b32 v13, v[6:7] offset:24
	s_waitcnt vmcnt(0) lgkmcnt(0)
	v_dot4_i32_iu8 v12, v12, v13, v18 neg_lo:[1,1,0]
	flat_store_b32 v[8:9], v12 offset:24
	flat_load_b32 v12, v[4:5]
	flat_load_b32 v13, v[6:7] offset:28
	s_waitcnt vmcnt(0) lgkmcnt(0)
	v_dot4_i32_iu8 v12, v12, v13, v19 neg_lo:[1,1,0]
	flat_store_b32 v[8:9], v12 offset:28
	flat_load_b32 v12, v[4:5] offset:4
	flat_load_b32 v13, v[6:7] offset:16
	s_waitcnt vmcnt(0) lgkmcnt(0)
	v_dot4_i32_iu8 v12, v12, v13, v20 neg_lo:[1,1,0]
	flat_store_b32 v[8:9], v12 offset:48
	flat_load_b32 v12, v[4:5] offset:4
	flat_load_b32 v13, v[6:7] offset:20
	s_waitcnt vmcnt(0) lgkmcnt(0)
	v_dot4_i32_iu8 v12, v12, v13, v21 neg_lo:[1,1,0]
	flat_store_b32 v[8:9], v12 offset:52
	;; [unrolled: 5-line block ×12, first 2 shown]
	flat_load_b32 v14, v[0:1] offset:16
	flat_load_b64 v[12:13], v[2:3]
	s_waitcnt vmcnt(1) lgkmcnt(1)
	v_ashrrev_i32_e32 v15, 31, v14
	s_waitcnt vmcnt(0) lgkmcnt(0)
	v_add_co_u32 v12, vcc_lo, v12, v14
	s_delay_alu instid0(VALU_DEP_2) | instskip(NEXT) | instid1(VALU_DEP_2)
	v_add_co_ci_u32_e32 v13, vcc_lo, v13, v15, vcc_lo
	v_add_co_u32 v12, vcc_lo, 0x1000, v12
	s_delay_alu instid0(VALU_DEP_2)
	v_add_co_ci_u32_e32 v13, vcc_lo, 0, v13, vcc_lo
	flat_load_b128 v[12:15], v[12:13] offset:1536
	flat_load_b32 v20, v[4:5] offset:16
	s_waitcnt vmcnt(1) lgkmcnt(1)
	flat_store_b128 v[4:5], v[12:15]
	flat_load_b32 v21, v[6:7]
	s_clause 0x1
	flat_load_b128 v[12:15], v[8:9] offset:128
	flat_load_b128 v[16:19], v[8:9] offset:160
	s_waitcnt vmcnt(1) lgkmcnt(1)
	v_dot4_i32_iu8 v12, v20, v21, v12 neg_lo:[1,1,0]
	flat_store_b32 v[8:9], v12 offset:128
	flat_load_b32 v12, v[4:5] offset:16
	flat_load_b32 v20, v[6:7] offset:4
	s_waitcnt vmcnt(0) lgkmcnt(0)
	v_dot4_i32_iu8 v12, v12, v20, v13 neg_lo:[1,1,0]
	flat_store_b32 v[8:9], v12 offset:132
	flat_load_b32 v12, v[4:5] offset:16
	flat_load_b32 v13, v[6:7] offset:8
	;; [unrolled: 5-line block ×3, first 2 shown]
	s_waitcnt vmcnt(0) lgkmcnt(0)
	v_dot4_i32_iu8 v12, v12, v13, v15 neg_lo:[1,1,0]
	flat_store_b32 v[8:9], v12 offset:140
	flat_load_b32 v12, v[4:5] offset:20
	flat_load_b32 v13, v[6:7]
	s_waitcnt vmcnt(0) lgkmcnt(0)
	v_dot4_i32_iu8 v12, v12, v13, v16 neg_lo:[1,1,0]
	flat_store_b32 v[8:9], v12 offset:160
	flat_load_b32 v12, v[4:5] offset:20
	flat_load_b32 v13, v[6:7] offset:4
	s_waitcnt vmcnt(0) lgkmcnt(0)
	v_dot4_i32_iu8 v12, v12, v13, v17 neg_lo:[1,1,0]
	flat_store_b32 v[8:9], v12 offset:164
	flat_load_b32 v12, v[4:5] offset:20
	flat_load_b32 v13, v[6:7] offset:8
	s_waitcnt vmcnt(0) lgkmcnt(0)
	v_dot4_i32_iu8 v12, v12, v13, v18 neg_lo:[1,1,0]
	flat_store_b32 v[8:9], v12 offset:168
	flat_load_b32 v12, v[4:5] offset:20
	flat_load_b32 v13, v[6:7] offset:12
	s_waitcnt vmcnt(0) lgkmcnt(0)
	v_dot4_i32_iu8 v12, v12, v13, v19 neg_lo:[1,1,0]
	flat_store_b32 v[8:9], v12 offset:172
	flat_load_b32 v20, v[4:5] offset:24
	flat_load_b32 v21, v[6:7]
	s_clause 0x1
	flat_load_b128 v[12:15], v[8:9] offset:192
	flat_load_b128 v[16:19], v[8:9] offset:224
	s_waitcnt vmcnt(1) lgkmcnt(1)
	v_dot4_i32_iu8 v12, v20, v21, v12 neg_lo:[1,1,0]
	flat_store_b32 v[8:9], v12 offset:192
	flat_load_b32 v12, v[4:5] offset:24
	flat_load_b32 v20, v[6:7] offset:4
	s_waitcnt vmcnt(0) lgkmcnt(0)
	v_dot4_i32_iu8 v12, v12, v20, v13 neg_lo:[1,1,0]
	flat_store_b32 v[8:9], v12 offset:196
	flat_load_b32 v12, v[4:5] offset:24
	flat_load_b32 v13, v[6:7] offset:8
	s_waitcnt vmcnt(0) lgkmcnt(0)
	v_dot4_i32_iu8 v12, v12, v13, v14 neg_lo:[1,1,0]
	flat_store_b32 v[8:9], v12 offset:200
	flat_load_b32 v12, v[4:5] offset:24
	flat_load_b32 v13, v[6:7] offset:12
	s_waitcnt vmcnt(0) lgkmcnt(0)
	v_dot4_i32_iu8 v12, v12, v13, v15 neg_lo:[1,1,0]
	flat_store_b32 v[8:9], v12 offset:204
	flat_load_b32 v12, v[4:5] offset:28
	flat_load_b32 v13, v[6:7]
	s_waitcnt vmcnt(0) lgkmcnt(0)
	v_dot4_i32_iu8 v12, v12, v13, v16 neg_lo:[1,1,0]
	flat_store_b32 v[8:9], v12 offset:224
	flat_load_b32 v12, v[4:5] offset:28
	flat_load_b32 v13, v[6:7] offset:4
	s_waitcnt vmcnt(0) lgkmcnt(0)
	v_dot4_i32_iu8 v12, v12, v13, v17 neg_lo:[1,1,0]
	flat_store_b32 v[8:9], v12 offset:228
	flat_load_b32 v12, v[4:5] offset:28
	flat_load_b32 v13, v[6:7] offset:8
	;; [unrolled: 5-line block ×3, first 2 shown]
	s_waitcnt vmcnt(0) lgkmcnt(0)
	v_dot4_i32_iu8 v12, v12, v13, v19 neg_lo:[1,1,0]
	flat_store_b32 v[8:9], v12 offset:236
	flat_load_b32 v14, v[0:1] offset:48
	flat_load_b64 v[12:13], v[10:11]
	s_waitcnt vmcnt(1) lgkmcnt(1)
	v_ashrrev_i32_e32 v15, 31, v14
	s_waitcnt vmcnt(0) lgkmcnt(0)
	v_add_co_u32 v12, vcc_lo, v12, v14
	s_delay_alu instid0(VALU_DEP_2) | instskip(NEXT) | instid1(VALU_DEP_2)
	v_add_co_ci_u32_e32 v13, vcc_lo, v13, v15, vcc_lo
	v_add_co_u32 v12, vcc_lo, 0x1000, v12
	s_delay_alu instid0(VALU_DEP_2)
	v_add_co_ci_u32_e32 v13, vcc_lo, 0, v13, vcc_lo
	flat_load_b128 v[12:15], v[12:13] offset:1536
	flat_load_b32 v20, v[6:7] offset:16
	s_waitcnt vmcnt(1) lgkmcnt(1)
	flat_store_b128 v[6:7], v[12:15]
	flat_load_b32 v21, v[4:5] offset:16
	s_clause 0x1
	flat_load_b128 v[12:15], v[8:9] offset:144
	flat_load_b128 v[16:19], v[8:9] offset:176
	s_waitcnt vmcnt(1) lgkmcnt(1)
	v_dot4_i32_iu8 v12, v21, v20, v12 neg_lo:[1,1,0]
	flat_store_b32 v[8:9], v12 offset:144
	flat_load_b32 v12, v[4:5] offset:16
	flat_load_b32 v20, v[6:7] offset:20
	s_waitcnt vmcnt(0) lgkmcnt(0)
	v_dot4_i32_iu8 v12, v12, v20, v13 neg_lo:[1,1,0]
	flat_store_b32 v[8:9], v12 offset:148
	flat_load_b32 v12, v[4:5] offset:16
	flat_load_b32 v13, v[6:7] offset:24
	;; [unrolled: 5-line block ×8, first 2 shown]
	s_clause 0x1
	flat_load_b128 v[12:15], v[8:9] offset:208
	flat_load_b128 v[16:19], v[8:9] offset:240
	s_waitcnt vmcnt(1) lgkmcnt(1)
	v_dot4_i32_iu8 v12, v20, v21, v12 neg_lo:[1,1,0]
	flat_store_b32 v[8:9], v12 offset:208
	flat_load_b32 v12, v[4:5] offset:24
	flat_load_b32 v20, v[6:7] offset:20
	s_waitcnt vmcnt(0) lgkmcnt(0)
	v_dot4_i32_iu8 v12, v12, v20, v13 neg_lo:[1,1,0]
	flat_store_b32 v[8:9], v12 offset:212
	flat_load_b32 v12, v[4:5] offset:24
	flat_load_b32 v13, v[6:7] offset:24
	s_waitcnt vmcnt(0) lgkmcnt(0)
	v_dot4_i32_iu8 v12, v12, v13, v14 neg_lo:[1,1,0]
	flat_store_b32 v[8:9], v12 offset:216
	flat_load_b32 v12, v[4:5] offset:24
	flat_load_b32 v13, v[6:7] offset:28
	s_waitcnt vmcnt(0) lgkmcnt(0)
	v_dot4_i32_iu8 v12, v12, v13, v15 neg_lo:[1,1,0]
	flat_store_b32 v[8:9], v12 offset:220
	flat_load_b32 v12, v[4:5] offset:28
	flat_load_b32 v13, v[6:7] offset:16
	s_waitcnt vmcnt(0) lgkmcnt(0)
	v_dot4_i32_iu8 v12, v12, v13, v16 neg_lo:[1,1,0]
	flat_store_b32 v[8:9], v12 offset:240
	flat_load_b32 v12, v[4:5] offset:28
	flat_load_b32 v13, v[6:7] offset:20
	s_waitcnt vmcnt(0) lgkmcnt(0)
	v_dot4_i32_iu8 v12, v12, v13, v17 neg_lo:[1,1,0]
	flat_store_b32 v[8:9], v12 offset:244
	flat_load_b32 v12, v[4:5] offset:28
	flat_load_b32 v13, v[6:7] offset:24
	s_waitcnt vmcnt(0) lgkmcnt(0)
	v_dot4_i32_iu8 v12, v12, v13, v18 neg_lo:[1,1,0]
	flat_store_b32 v[8:9], v12 offset:248
	flat_load_b32 v12, v[4:5] offset:28
	flat_load_b32 v13, v[6:7] offset:28
	s_waitcnt vmcnt(0) lgkmcnt(0)
	v_dot4_i32_iu8 v12, v12, v13, v19 neg_lo:[1,1,0]
	flat_store_b32 v[8:9], v12 offset:252
	flat_load_b32 v14, v[0:1] offset:48
	flat_load_b64 v[12:13], v[10:11]
	s_waitcnt vmcnt(1) lgkmcnt(1)
	v_ashrrev_i32_e32 v15, 31, v14
	s_waitcnt vmcnt(0) lgkmcnt(0)
	v_add_co_u32 v12, vcc_lo, v12, v14
	s_delay_alu instid0(VALU_DEP_2) | instskip(NEXT) | instid1(VALU_DEP_2)
	v_add_co_ci_u32_e32 v13, vcc_lo, v13, v15, vcc_lo
	v_add_co_u32 v12, vcc_lo, 0x1000, v12
	s_delay_alu instid0(VALU_DEP_2)
	v_add_co_ci_u32_e32 v13, vcc_lo, 0, v13, vcc_lo
	flat_load_b128 v[12:15], v[12:13] offset:1792
	s_waitcnt vmcnt(0) lgkmcnt(0)
	flat_store_b128 v[6:7], v[12:15] offset:16
	flat_load_b32 v14, v[0:1] offset:16
	flat_load_b64 v[12:13], v[2:3]
	s_waitcnt vmcnt(1) lgkmcnt(1)
	v_ashrrev_i32_e32 v15, 31, v14
	s_waitcnt vmcnt(0) lgkmcnt(0)
	v_add_co_u32 v12, vcc_lo, v12, v14
	s_delay_alu instid0(VALU_DEP_2) | instskip(NEXT) | instid1(VALU_DEP_2)
	v_add_co_ci_u32_e32 v13, vcc_lo, v13, v15, vcc_lo
	v_add_co_u32 v12, vcc_lo, 0x1000, v12
	s_delay_alu instid0(VALU_DEP_2)
	v_add_co_ci_u32_e32 v13, vcc_lo, 0, v13, vcc_lo
	flat_load_b128 v[12:15], v[12:13] offset:1792
	flat_load_b32 v20, v[4:5]
	s_waitcnt vmcnt(1) lgkmcnt(1)
	flat_store_b128 v[4:5], v[12:15] offset:16
	flat_load_b32 v21, v[6:7]
	s_clause 0x1
	flat_load_b128 v[12:15], v[8:9]
	flat_load_b128 v[16:19], v[8:9] offset:16
	s_waitcnt vmcnt(1) lgkmcnt(1)
	v_dot4_i32_iu8 v12, v20, v21, v12 neg_lo:[1,1,0]
	flat_store_b32 v[8:9], v12
	flat_load_b32 v12, v[4:5]
	flat_load_b32 v20, v[6:7] offset:4
	s_waitcnt vmcnt(0) lgkmcnt(0)
	v_dot4_i32_iu8 v12, v12, v20, v13 neg_lo:[1,1,0]
	flat_store_b32 v[8:9], v12 offset:4
	flat_load_b32 v12, v[4:5]
	flat_load_b32 v13, v[6:7] offset:8
	s_waitcnt vmcnt(0) lgkmcnt(0)
	v_dot4_i32_iu8 v12, v12, v13, v14 neg_lo:[1,1,0]
	flat_store_b32 v[8:9], v12 offset:8
	;; [unrolled: 5-line block ×3, first 2 shown]
	flat_load_b32 v24, v[4:5] offset:4
	flat_load_b32 v25, v[6:7]
	s_clause 0x1
	flat_load_b128 v[12:15], v[8:9] offset:32
	flat_load_b128 v[20:23], v[8:9] offset:48
	s_waitcnt vmcnt(1) lgkmcnt(1)
	v_dot4_i32_iu8 v12, v24, v25, v12 neg_lo:[1,1,0]
	flat_store_b32 v[8:9], v12 offset:32
	flat_load_b32 v12, v[4:5] offset:4
	flat_load_b32 v24, v[6:7] offset:4
	s_waitcnt vmcnt(0) lgkmcnt(0)
	v_dot4_i32_iu8 v12, v12, v24, v13 neg_lo:[1,1,0]
	flat_store_b32 v[8:9], v12 offset:36
	flat_load_b32 v12, v[4:5] offset:4
	flat_load_b32 v13, v[6:7] offset:8
	s_waitcnt vmcnt(0) lgkmcnt(0)
	v_dot4_i32_iu8 v12, v12, v13, v14 neg_lo:[1,1,0]
	flat_store_b32 v[8:9], v12 offset:40
	flat_load_b32 v12, v[4:5] offset:4
	flat_load_b32 v13, v[6:7] offset:12
	s_waitcnt vmcnt(0) lgkmcnt(0)
	v_dot4_i32_iu8 v12, v12, v13, v15 neg_lo:[1,1,0]
	flat_store_b32 v[8:9], v12 offset:44
	flat_load_b32 v28, v[4:5] offset:8
	flat_load_b32 v29, v[6:7]
	s_clause 0x1
	flat_load_b128 v[12:15], v[8:9] offset:64
	flat_load_b128 v[24:27], v[8:9] offset:80
	s_waitcnt vmcnt(1) lgkmcnt(1)
	v_dot4_i32_iu8 v12, v28, v29, v12 neg_lo:[1,1,0]
	flat_store_b32 v[8:9], v12 offset:64
	flat_load_b32 v12, v[4:5] offset:8
	flat_load_b32 v28, v[6:7] offset:4
	s_waitcnt vmcnt(0) lgkmcnt(0)
	v_dot4_i32_iu8 v12, v12, v28, v13 neg_lo:[1,1,0]
	flat_store_b32 v[8:9], v12 offset:68
	flat_load_b32 v12, v[4:5] offset:8
	flat_load_b32 v13, v[6:7] offset:8
	s_waitcnt vmcnt(0) lgkmcnt(0)
	v_dot4_i32_iu8 v12, v12, v13, v14 neg_lo:[1,1,0]
	flat_store_b32 v[8:9], v12 offset:72
	flat_load_b32 v12, v[4:5] offset:8
	flat_load_b32 v13, v[6:7] offset:12
	s_waitcnt vmcnt(0) lgkmcnt(0)
	v_dot4_i32_iu8 v12, v12, v13, v15 neg_lo:[1,1,0]
	flat_store_b32 v[8:9], v12 offset:76
	;; [unrolled: 23-line block ×3, first 2 shown]
	flat_load_b32 v12, v[4:5]
	flat_load_b32 v13, v[6:7] offset:16
	s_waitcnt vmcnt(0) lgkmcnt(0)
	v_dot4_i32_iu8 v12, v12, v13, v16 neg_lo:[1,1,0]
	flat_store_b32 v[8:9], v12 offset:16
	flat_load_b32 v12, v[4:5]
	flat_load_b32 v13, v[6:7] offset:20
	s_waitcnt vmcnt(0) lgkmcnt(0)
	v_dot4_i32_iu8 v12, v12, v13, v17 neg_lo:[1,1,0]
	flat_store_b32 v[8:9], v12 offset:20
	;; [unrolled: 5-line block ×4, first 2 shown]
	flat_load_b32 v12, v[4:5] offset:4
	flat_load_b32 v13, v[6:7] offset:16
	s_waitcnt vmcnt(0) lgkmcnt(0)
	v_dot4_i32_iu8 v12, v12, v13, v20 neg_lo:[1,1,0]
	flat_store_b32 v[8:9], v12 offset:48
	flat_load_b32 v12, v[4:5] offset:4
	flat_load_b32 v13, v[6:7] offset:20
	s_waitcnt vmcnt(0) lgkmcnt(0)
	v_dot4_i32_iu8 v12, v12, v13, v21 neg_lo:[1,1,0]
	flat_store_b32 v[8:9], v12 offset:52
	;; [unrolled: 5-line block ×12, first 2 shown]
	flat_load_b32 v14, v[0:1] offset:16
	flat_load_b64 v[12:13], v[2:3]
	s_waitcnt vmcnt(1) lgkmcnt(1)
	v_ashrrev_i32_e32 v15, 31, v14
	s_waitcnt vmcnt(0) lgkmcnt(0)
	v_add_co_u32 v12, vcc_lo, v12, v14
	s_delay_alu instid0(VALU_DEP_2) | instskip(NEXT) | instid1(VALU_DEP_2)
	v_add_co_ci_u32_e32 v13, vcc_lo, v13, v15, vcc_lo
	v_add_co_u32 v12, vcc_lo, 0x1000, v12
	s_delay_alu instid0(VALU_DEP_2)
	v_add_co_ci_u32_e32 v13, vcc_lo, 0, v13, vcc_lo
	flat_load_b128 v[12:15], v[12:13] offset:2048
	flat_load_b32 v20, v[4:5] offset:16
	s_waitcnt vmcnt(1) lgkmcnt(1)
	flat_store_b128 v[4:5], v[12:15]
	flat_load_b32 v21, v[6:7]
	s_clause 0x1
	flat_load_b128 v[12:15], v[8:9] offset:128
	flat_load_b128 v[16:19], v[8:9] offset:160
	s_waitcnt vmcnt(1) lgkmcnt(1)
	v_dot4_i32_iu8 v12, v20, v21, v12 neg_lo:[1,1,0]
	flat_store_b32 v[8:9], v12 offset:128
	flat_load_b32 v12, v[4:5] offset:16
	flat_load_b32 v20, v[6:7] offset:4
	s_waitcnt vmcnt(0) lgkmcnt(0)
	v_dot4_i32_iu8 v12, v12, v20, v13 neg_lo:[1,1,0]
	flat_store_b32 v[8:9], v12 offset:132
	flat_load_b32 v12, v[4:5] offset:16
	flat_load_b32 v13, v[6:7] offset:8
	;; [unrolled: 5-line block ×3, first 2 shown]
	s_waitcnt vmcnt(0) lgkmcnt(0)
	v_dot4_i32_iu8 v12, v12, v13, v15 neg_lo:[1,1,0]
	flat_store_b32 v[8:9], v12 offset:140
	flat_load_b32 v12, v[4:5] offset:20
	flat_load_b32 v13, v[6:7]
	s_waitcnt vmcnt(0) lgkmcnt(0)
	v_dot4_i32_iu8 v12, v12, v13, v16 neg_lo:[1,1,0]
	flat_store_b32 v[8:9], v12 offset:160
	flat_load_b32 v12, v[4:5] offset:20
	flat_load_b32 v13, v[6:7] offset:4
	s_waitcnt vmcnt(0) lgkmcnt(0)
	v_dot4_i32_iu8 v12, v12, v13, v17 neg_lo:[1,1,0]
	flat_store_b32 v[8:9], v12 offset:164
	flat_load_b32 v12, v[4:5] offset:20
	flat_load_b32 v13, v[6:7] offset:8
	;; [unrolled: 5-line block ×3, first 2 shown]
	s_waitcnt vmcnt(0) lgkmcnt(0)
	v_dot4_i32_iu8 v12, v12, v13, v19 neg_lo:[1,1,0]
	flat_store_b32 v[8:9], v12 offset:172
	flat_load_b32 v20, v[4:5] offset:24
	flat_load_b32 v21, v[6:7]
	s_clause 0x1
	flat_load_b128 v[12:15], v[8:9] offset:192
	flat_load_b128 v[16:19], v[8:9] offset:224
	s_waitcnt vmcnt(1) lgkmcnt(1)
	v_dot4_i32_iu8 v12, v20, v21, v12 neg_lo:[1,1,0]
	flat_store_b32 v[8:9], v12 offset:192
	flat_load_b32 v12, v[4:5] offset:24
	flat_load_b32 v20, v[6:7] offset:4
	s_waitcnt vmcnt(0) lgkmcnt(0)
	v_dot4_i32_iu8 v12, v12, v20, v13 neg_lo:[1,1,0]
	flat_store_b32 v[8:9], v12 offset:196
	flat_load_b32 v12, v[4:5] offset:24
	flat_load_b32 v13, v[6:7] offset:8
	;; [unrolled: 5-line block ×3, first 2 shown]
	s_waitcnt vmcnt(0) lgkmcnt(0)
	v_dot4_i32_iu8 v12, v12, v13, v15 neg_lo:[1,1,0]
	flat_store_b32 v[8:9], v12 offset:204
	flat_load_b32 v12, v[4:5] offset:28
	flat_load_b32 v13, v[6:7]
	s_waitcnt vmcnt(0) lgkmcnt(0)
	v_dot4_i32_iu8 v12, v12, v13, v16 neg_lo:[1,1,0]
	flat_store_b32 v[8:9], v12 offset:224
	flat_load_b32 v12, v[4:5] offset:28
	flat_load_b32 v13, v[6:7] offset:4
	s_waitcnt vmcnt(0) lgkmcnt(0)
	v_dot4_i32_iu8 v12, v12, v13, v17 neg_lo:[1,1,0]
	flat_store_b32 v[8:9], v12 offset:228
	flat_load_b32 v12, v[4:5] offset:28
	flat_load_b32 v13, v[6:7] offset:8
	;; [unrolled: 5-line block ×3, first 2 shown]
	s_waitcnt vmcnt(0) lgkmcnt(0)
	v_dot4_i32_iu8 v12, v12, v13, v19 neg_lo:[1,1,0]
	flat_store_b32 v[8:9], v12 offset:236
	flat_load_b32 v14, v[0:1] offset:48
	flat_load_b64 v[12:13], v[10:11]
	s_waitcnt vmcnt(1) lgkmcnt(1)
	v_ashrrev_i32_e32 v15, 31, v14
	s_waitcnt vmcnt(0) lgkmcnt(0)
	v_add_co_u32 v12, vcc_lo, v12, v14
	s_delay_alu instid0(VALU_DEP_2) | instskip(NEXT) | instid1(VALU_DEP_2)
	v_add_co_ci_u32_e32 v13, vcc_lo, v13, v15, vcc_lo
	v_add_co_u32 v12, vcc_lo, 0x1000, v12
	s_delay_alu instid0(VALU_DEP_2)
	v_add_co_ci_u32_e32 v13, vcc_lo, 0, v13, vcc_lo
	flat_load_b128 v[12:15], v[12:13] offset:2048
	flat_load_b32 v20, v[6:7] offset:16
	s_waitcnt vmcnt(1) lgkmcnt(1)
	flat_store_b128 v[6:7], v[12:15]
	flat_load_b32 v21, v[4:5] offset:16
	s_clause 0x1
	flat_load_b128 v[12:15], v[8:9] offset:144
	flat_load_b128 v[16:19], v[8:9] offset:176
	s_waitcnt vmcnt(1) lgkmcnt(1)
	v_dot4_i32_iu8 v12, v21, v20, v12 neg_lo:[1,1,0]
	flat_store_b32 v[8:9], v12 offset:144
	flat_load_b32 v12, v[4:5] offset:16
	flat_load_b32 v20, v[6:7] offset:20
	s_waitcnt vmcnt(0) lgkmcnt(0)
	v_dot4_i32_iu8 v12, v12, v20, v13 neg_lo:[1,1,0]
	flat_store_b32 v[8:9], v12 offset:148
	flat_load_b32 v12, v[4:5] offset:16
	flat_load_b32 v13, v[6:7] offset:24
	;; [unrolled: 5-line block ×8, first 2 shown]
	s_clause 0x1
	flat_load_b128 v[12:15], v[8:9] offset:208
	flat_load_b128 v[16:19], v[8:9] offset:240
	s_waitcnt vmcnt(1) lgkmcnt(1)
	v_dot4_i32_iu8 v12, v20, v21, v12 neg_lo:[1,1,0]
	flat_store_b32 v[8:9], v12 offset:208
	flat_load_b32 v12, v[4:5] offset:24
	flat_load_b32 v20, v[6:7] offset:20
	s_waitcnt vmcnt(0) lgkmcnt(0)
	v_dot4_i32_iu8 v12, v12, v20, v13 neg_lo:[1,1,0]
	flat_store_b32 v[8:9], v12 offset:212
	flat_load_b32 v12, v[4:5] offset:24
	flat_load_b32 v13, v[6:7] offset:24
	s_waitcnt vmcnt(0) lgkmcnt(0)
	v_dot4_i32_iu8 v12, v12, v13, v14 neg_lo:[1,1,0]
	flat_store_b32 v[8:9], v12 offset:216
	flat_load_b32 v12, v[4:5] offset:24
	flat_load_b32 v13, v[6:7] offset:28
	s_waitcnt vmcnt(0) lgkmcnt(0)
	v_dot4_i32_iu8 v12, v12, v13, v15 neg_lo:[1,1,0]
	flat_store_b32 v[8:9], v12 offset:220
	flat_load_b32 v12, v[4:5] offset:28
	flat_load_b32 v13, v[6:7] offset:16
	s_waitcnt vmcnt(0) lgkmcnt(0)
	v_dot4_i32_iu8 v12, v12, v13, v16 neg_lo:[1,1,0]
	flat_store_b32 v[8:9], v12 offset:240
	flat_load_b32 v12, v[4:5] offset:28
	flat_load_b32 v13, v[6:7] offset:20
	s_waitcnt vmcnt(0) lgkmcnt(0)
	v_dot4_i32_iu8 v12, v12, v13, v17 neg_lo:[1,1,0]
	flat_store_b32 v[8:9], v12 offset:244
	flat_load_b32 v12, v[4:5] offset:28
	flat_load_b32 v13, v[6:7] offset:24
	s_waitcnt vmcnt(0) lgkmcnt(0)
	v_dot4_i32_iu8 v12, v12, v13, v18 neg_lo:[1,1,0]
	flat_store_b32 v[8:9], v12 offset:248
	flat_load_b32 v12, v[4:5] offset:28
	flat_load_b32 v13, v[6:7] offset:28
	s_waitcnt vmcnt(0) lgkmcnt(0)
	v_dot4_i32_iu8 v12, v12, v13, v19 neg_lo:[1,1,0]
	flat_store_b32 v[8:9], v12 offset:252
	flat_load_b32 v14, v[0:1] offset:48
	flat_load_b64 v[12:13], v[10:11]
	s_waitcnt vmcnt(1) lgkmcnt(1)
	v_ashrrev_i32_e32 v15, 31, v14
	s_waitcnt vmcnt(0) lgkmcnt(0)
	v_add_co_u32 v12, vcc_lo, v12, v14
	s_delay_alu instid0(VALU_DEP_2) | instskip(NEXT) | instid1(VALU_DEP_2)
	v_add_co_ci_u32_e32 v13, vcc_lo, v13, v15, vcc_lo
	v_add_co_u32 v12, vcc_lo, 0x1000, v12
	s_delay_alu instid0(VALU_DEP_2)
	v_add_co_ci_u32_e32 v13, vcc_lo, 0, v13, vcc_lo
	flat_load_b128 v[12:15], v[12:13] offset:2304
	s_waitcnt vmcnt(0) lgkmcnt(0)
	flat_store_b128 v[6:7], v[12:15] offset:16
	flat_load_b32 v14, v[0:1] offset:16
	flat_load_b64 v[12:13], v[2:3]
	s_waitcnt vmcnt(1) lgkmcnt(1)
	v_ashrrev_i32_e32 v15, 31, v14
	s_waitcnt vmcnt(0) lgkmcnt(0)
	v_add_co_u32 v12, vcc_lo, v12, v14
	s_delay_alu instid0(VALU_DEP_2) | instskip(NEXT) | instid1(VALU_DEP_2)
	v_add_co_ci_u32_e32 v13, vcc_lo, v13, v15, vcc_lo
	v_add_co_u32 v12, vcc_lo, 0x1000, v12
	s_delay_alu instid0(VALU_DEP_2)
	v_add_co_ci_u32_e32 v13, vcc_lo, 0, v13, vcc_lo
	flat_load_b128 v[12:15], v[12:13] offset:2304
	flat_load_b32 v20, v[4:5]
	s_waitcnt vmcnt(1) lgkmcnt(1)
	flat_store_b128 v[4:5], v[12:15] offset:16
	flat_load_b32 v21, v[6:7]
	s_clause 0x1
	flat_load_b128 v[12:15], v[8:9]
	flat_load_b128 v[16:19], v[8:9] offset:16
	s_waitcnt vmcnt(1) lgkmcnt(1)
	v_dot4_i32_iu8 v12, v20, v21, v12 neg_lo:[1,1,0]
	flat_store_b32 v[8:9], v12
	flat_load_b32 v12, v[4:5]
	flat_load_b32 v20, v[6:7] offset:4
	s_waitcnt vmcnt(0) lgkmcnt(0)
	v_dot4_i32_iu8 v12, v12, v20, v13 neg_lo:[1,1,0]
	flat_store_b32 v[8:9], v12 offset:4
	flat_load_b32 v12, v[4:5]
	flat_load_b32 v13, v[6:7] offset:8
	s_waitcnt vmcnt(0) lgkmcnt(0)
	v_dot4_i32_iu8 v12, v12, v13, v14 neg_lo:[1,1,0]
	flat_store_b32 v[8:9], v12 offset:8
	;; [unrolled: 5-line block ×3, first 2 shown]
	flat_load_b32 v24, v[4:5] offset:4
	flat_load_b32 v25, v[6:7]
	s_clause 0x1
	flat_load_b128 v[12:15], v[8:9] offset:32
	flat_load_b128 v[20:23], v[8:9] offset:48
	s_waitcnt vmcnt(1) lgkmcnt(1)
	v_dot4_i32_iu8 v12, v24, v25, v12 neg_lo:[1,1,0]
	flat_store_b32 v[8:9], v12 offset:32
	flat_load_b32 v12, v[4:5] offset:4
	flat_load_b32 v24, v[6:7] offset:4
	s_waitcnt vmcnt(0) lgkmcnt(0)
	v_dot4_i32_iu8 v12, v12, v24, v13 neg_lo:[1,1,0]
	flat_store_b32 v[8:9], v12 offset:36
	flat_load_b32 v12, v[4:5] offset:4
	flat_load_b32 v13, v[6:7] offset:8
	s_waitcnt vmcnt(0) lgkmcnt(0)
	v_dot4_i32_iu8 v12, v12, v13, v14 neg_lo:[1,1,0]
	flat_store_b32 v[8:9], v12 offset:40
	flat_load_b32 v12, v[4:5] offset:4
	flat_load_b32 v13, v[6:7] offset:12
	s_waitcnt vmcnt(0) lgkmcnt(0)
	v_dot4_i32_iu8 v12, v12, v13, v15 neg_lo:[1,1,0]
	flat_store_b32 v[8:9], v12 offset:44
	flat_load_b32 v28, v[4:5] offset:8
	flat_load_b32 v29, v[6:7]
	s_clause 0x1
	flat_load_b128 v[12:15], v[8:9] offset:64
	flat_load_b128 v[24:27], v[8:9] offset:80
	s_waitcnt vmcnt(1) lgkmcnt(1)
	v_dot4_i32_iu8 v12, v28, v29, v12 neg_lo:[1,1,0]
	flat_store_b32 v[8:9], v12 offset:64
	flat_load_b32 v12, v[4:5] offset:8
	flat_load_b32 v28, v[6:7] offset:4
	s_waitcnt vmcnt(0) lgkmcnt(0)
	v_dot4_i32_iu8 v12, v12, v28, v13 neg_lo:[1,1,0]
	flat_store_b32 v[8:9], v12 offset:68
	flat_load_b32 v12, v[4:5] offset:8
	flat_load_b32 v13, v[6:7] offset:8
	s_waitcnt vmcnt(0) lgkmcnt(0)
	v_dot4_i32_iu8 v12, v12, v13, v14 neg_lo:[1,1,0]
	flat_store_b32 v[8:9], v12 offset:72
	flat_load_b32 v12, v[4:5] offset:8
	flat_load_b32 v13, v[6:7] offset:12
	s_waitcnt vmcnt(0) lgkmcnt(0)
	v_dot4_i32_iu8 v12, v12, v13, v15 neg_lo:[1,1,0]
	flat_store_b32 v[8:9], v12 offset:76
	;; [unrolled: 23-line block ×3, first 2 shown]
	flat_load_b32 v12, v[4:5]
	flat_load_b32 v13, v[6:7] offset:16
	s_waitcnt vmcnt(0) lgkmcnt(0)
	v_dot4_i32_iu8 v12, v12, v13, v16 neg_lo:[1,1,0]
	flat_store_b32 v[8:9], v12 offset:16
	flat_load_b32 v12, v[4:5]
	flat_load_b32 v13, v[6:7] offset:20
	s_waitcnt vmcnt(0) lgkmcnt(0)
	v_dot4_i32_iu8 v12, v12, v13, v17 neg_lo:[1,1,0]
	flat_store_b32 v[8:9], v12 offset:20
	;; [unrolled: 5-line block ×4, first 2 shown]
	flat_load_b32 v12, v[4:5] offset:4
	flat_load_b32 v13, v[6:7] offset:16
	s_waitcnt vmcnt(0) lgkmcnt(0)
	v_dot4_i32_iu8 v12, v12, v13, v20 neg_lo:[1,1,0]
	flat_store_b32 v[8:9], v12 offset:48
	flat_load_b32 v12, v[4:5] offset:4
	flat_load_b32 v13, v[6:7] offset:20
	s_waitcnt vmcnt(0) lgkmcnt(0)
	v_dot4_i32_iu8 v12, v12, v13, v21 neg_lo:[1,1,0]
	flat_store_b32 v[8:9], v12 offset:52
	;; [unrolled: 5-line block ×12, first 2 shown]
	flat_load_b32 v14, v[0:1] offset:16
	flat_load_b64 v[12:13], v[2:3]
	s_waitcnt vmcnt(1) lgkmcnt(1)
	v_ashrrev_i32_e32 v15, 31, v14
	s_waitcnt vmcnt(0) lgkmcnt(0)
	v_add_co_u32 v12, vcc_lo, v12, v14
	s_delay_alu instid0(VALU_DEP_2) | instskip(NEXT) | instid1(VALU_DEP_2)
	v_add_co_ci_u32_e32 v13, vcc_lo, v13, v15, vcc_lo
	v_add_co_u32 v12, vcc_lo, 0x1000, v12
	s_delay_alu instid0(VALU_DEP_2)
	v_add_co_ci_u32_e32 v13, vcc_lo, 0, v13, vcc_lo
	flat_load_b128 v[12:15], v[12:13] offset:2560
	flat_load_b32 v20, v[4:5] offset:16
	s_waitcnt vmcnt(1) lgkmcnt(1)
	flat_store_b128 v[4:5], v[12:15]
	flat_load_b32 v21, v[6:7]
	s_clause 0x1
	flat_load_b128 v[12:15], v[8:9] offset:128
	flat_load_b128 v[16:19], v[8:9] offset:160
	s_waitcnt vmcnt(1) lgkmcnt(1)
	v_dot4_i32_iu8 v12, v20, v21, v12 neg_lo:[1,1,0]
	flat_store_b32 v[8:9], v12 offset:128
	flat_load_b32 v12, v[4:5] offset:16
	flat_load_b32 v20, v[6:7] offset:4
	s_waitcnt vmcnt(0) lgkmcnt(0)
	v_dot4_i32_iu8 v12, v12, v20, v13 neg_lo:[1,1,0]
	flat_store_b32 v[8:9], v12 offset:132
	flat_load_b32 v12, v[4:5] offset:16
	flat_load_b32 v13, v[6:7] offset:8
	;; [unrolled: 5-line block ×3, first 2 shown]
	s_waitcnt vmcnt(0) lgkmcnt(0)
	v_dot4_i32_iu8 v12, v12, v13, v15 neg_lo:[1,1,0]
	flat_store_b32 v[8:9], v12 offset:140
	flat_load_b32 v12, v[4:5] offset:20
	flat_load_b32 v13, v[6:7]
	s_waitcnt vmcnt(0) lgkmcnt(0)
	v_dot4_i32_iu8 v12, v12, v13, v16 neg_lo:[1,1,0]
	flat_store_b32 v[8:9], v12 offset:160
	flat_load_b32 v12, v[4:5] offset:20
	flat_load_b32 v13, v[6:7] offset:4
	s_waitcnt vmcnt(0) lgkmcnt(0)
	v_dot4_i32_iu8 v12, v12, v13, v17 neg_lo:[1,1,0]
	flat_store_b32 v[8:9], v12 offset:164
	flat_load_b32 v12, v[4:5] offset:20
	flat_load_b32 v13, v[6:7] offset:8
	;; [unrolled: 5-line block ×3, first 2 shown]
	s_waitcnt vmcnt(0) lgkmcnt(0)
	v_dot4_i32_iu8 v12, v12, v13, v19 neg_lo:[1,1,0]
	flat_store_b32 v[8:9], v12 offset:172
	flat_load_b32 v20, v[4:5] offset:24
	flat_load_b32 v21, v[6:7]
	s_clause 0x1
	flat_load_b128 v[12:15], v[8:9] offset:192
	flat_load_b128 v[16:19], v[8:9] offset:224
	s_waitcnt vmcnt(1) lgkmcnt(1)
	v_dot4_i32_iu8 v12, v20, v21, v12 neg_lo:[1,1,0]
	flat_store_b32 v[8:9], v12 offset:192
	flat_load_b32 v12, v[4:5] offset:24
	flat_load_b32 v20, v[6:7] offset:4
	s_waitcnt vmcnt(0) lgkmcnt(0)
	v_dot4_i32_iu8 v12, v12, v20, v13 neg_lo:[1,1,0]
	flat_store_b32 v[8:9], v12 offset:196
	flat_load_b32 v12, v[4:5] offset:24
	flat_load_b32 v13, v[6:7] offset:8
	;; [unrolled: 5-line block ×3, first 2 shown]
	s_waitcnt vmcnt(0) lgkmcnt(0)
	v_dot4_i32_iu8 v12, v12, v13, v15 neg_lo:[1,1,0]
	flat_store_b32 v[8:9], v12 offset:204
	flat_load_b32 v12, v[4:5] offset:28
	flat_load_b32 v13, v[6:7]
	s_waitcnt vmcnt(0) lgkmcnt(0)
	v_dot4_i32_iu8 v12, v12, v13, v16 neg_lo:[1,1,0]
	flat_store_b32 v[8:9], v12 offset:224
	flat_load_b32 v12, v[4:5] offset:28
	flat_load_b32 v13, v[6:7] offset:4
	s_waitcnt vmcnt(0) lgkmcnt(0)
	v_dot4_i32_iu8 v12, v12, v13, v17 neg_lo:[1,1,0]
	flat_store_b32 v[8:9], v12 offset:228
	flat_load_b32 v12, v[4:5] offset:28
	flat_load_b32 v13, v[6:7] offset:8
	;; [unrolled: 5-line block ×3, first 2 shown]
	s_waitcnt vmcnt(0) lgkmcnt(0)
	v_dot4_i32_iu8 v12, v12, v13, v19 neg_lo:[1,1,0]
	flat_store_b32 v[8:9], v12 offset:236
	flat_load_b32 v14, v[0:1] offset:48
	flat_load_b64 v[12:13], v[10:11]
	s_waitcnt vmcnt(1) lgkmcnt(1)
	v_ashrrev_i32_e32 v15, 31, v14
	s_waitcnt vmcnt(0) lgkmcnt(0)
	v_add_co_u32 v12, vcc_lo, v12, v14
	s_delay_alu instid0(VALU_DEP_2) | instskip(NEXT) | instid1(VALU_DEP_2)
	v_add_co_ci_u32_e32 v13, vcc_lo, v13, v15, vcc_lo
	v_add_co_u32 v12, vcc_lo, 0x1000, v12
	s_delay_alu instid0(VALU_DEP_2)
	v_add_co_ci_u32_e32 v13, vcc_lo, 0, v13, vcc_lo
	flat_load_b128 v[12:15], v[12:13] offset:2560
	flat_load_b32 v20, v[6:7] offset:16
	s_waitcnt vmcnt(1) lgkmcnt(1)
	flat_store_b128 v[6:7], v[12:15]
	flat_load_b32 v21, v[4:5] offset:16
	s_clause 0x1
	flat_load_b128 v[12:15], v[8:9] offset:144
	flat_load_b128 v[16:19], v[8:9] offset:176
	s_waitcnt vmcnt(1) lgkmcnt(1)
	v_dot4_i32_iu8 v12, v21, v20, v12 neg_lo:[1,1,0]
	flat_store_b32 v[8:9], v12 offset:144
	flat_load_b32 v12, v[4:5] offset:16
	flat_load_b32 v20, v[6:7] offset:20
	s_waitcnt vmcnt(0) lgkmcnt(0)
	v_dot4_i32_iu8 v12, v12, v20, v13 neg_lo:[1,1,0]
	flat_store_b32 v[8:9], v12 offset:148
	flat_load_b32 v12, v[4:5] offset:16
	flat_load_b32 v13, v[6:7] offset:24
	;; [unrolled: 5-line block ×8, first 2 shown]
	s_clause 0x1
	flat_load_b128 v[12:15], v[8:9] offset:208
	flat_load_b128 v[16:19], v[8:9] offset:240
	s_waitcnt vmcnt(1) lgkmcnt(1)
	v_dot4_i32_iu8 v12, v20, v21, v12 neg_lo:[1,1,0]
	flat_store_b32 v[8:9], v12 offset:208
	flat_load_b32 v12, v[4:5] offset:24
	flat_load_b32 v20, v[6:7] offset:20
	s_waitcnt vmcnt(0) lgkmcnt(0)
	v_dot4_i32_iu8 v12, v12, v20, v13 neg_lo:[1,1,0]
	flat_store_b32 v[8:9], v12 offset:212
	flat_load_b32 v12, v[4:5] offset:24
	flat_load_b32 v13, v[6:7] offset:24
	;; [unrolled: 5-line block ×7, first 2 shown]
	s_waitcnt vmcnt(0) lgkmcnt(0)
	v_dot4_i32_iu8 v12, v12, v13, v19 neg_lo:[1,1,0]
	flat_store_b32 v[8:9], v12 offset:252
	flat_load_b32 v14, v[0:1] offset:48
	flat_load_b64 v[12:13], v[10:11]
	s_waitcnt vmcnt(1) lgkmcnt(1)
	v_ashrrev_i32_e32 v15, 31, v14
	s_waitcnt vmcnt(0) lgkmcnt(0)
	v_add_co_u32 v12, vcc_lo, v12, v14
	s_delay_alu instid0(VALU_DEP_2) | instskip(NEXT) | instid1(VALU_DEP_2)
	v_add_co_ci_u32_e32 v13, vcc_lo, v13, v15, vcc_lo
	v_add_co_u32 v12, vcc_lo, 0x1000, v12
	s_delay_alu instid0(VALU_DEP_2)
	v_add_co_ci_u32_e32 v13, vcc_lo, 0, v13, vcc_lo
	flat_load_b128 v[12:15], v[12:13] offset:2816
	s_waitcnt vmcnt(0) lgkmcnt(0)
	flat_store_b128 v[6:7], v[12:15] offset:16
	flat_load_b32 v14, v[0:1] offset:16
	flat_load_b64 v[12:13], v[2:3]
	s_waitcnt vmcnt(1) lgkmcnt(1)
	v_ashrrev_i32_e32 v15, 31, v14
	s_waitcnt vmcnt(0) lgkmcnt(0)
	v_add_co_u32 v12, vcc_lo, v12, v14
	s_delay_alu instid0(VALU_DEP_2) | instskip(NEXT) | instid1(VALU_DEP_2)
	v_add_co_ci_u32_e32 v13, vcc_lo, v13, v15, vcc_lo
	v_add_co_u32 v12, vcc_lo, 0x1000, v12
	s_delay_alu instid0(VALU_DEP_2)
	v_add_co_ci_u32_e32 v13, vcc_lo, 0, v13, vcc_lo
	flat_load_b128 v[12:15], v[12:13] offset:2816
	flat_load_b32 v16, v[4:5]
	s_waitcnt vmcnt(1) lgkmcnt(1)
	flat_store_b128 v[4:5], v[12:15] offset:16
	flat_load_b32 v17, v[6:7]
	flat_load_b128 v[12:15], v[8:9]
	s_waitcnt vmcnt(0) lgkmcnt(0)
	v_dot4_i32_iu8 v12, v16, v17, v12 neg_lo:[1,1,0]
	flat_store_b32 v[8:9], v12
	flat_load_b32 v12, v[4:5]
	flat_load_b32 v16, v[6:7] offset:4
	s_waitcnt vmcnt(0) lgkmcnt(0)
	v_dot4_i32_iu8 v12, v12, v16, v13 neg_lo:[1,1,0]
	flat_store_b32 v[8:9], v12 offset:4
	flat_load_b32 v12, v[4:5]
	flat_load_b32 v13, v[6:7] offset:8
	s_waitcnt vmcnt(0) lgkmcnt(0)
	v_dot4_i32_iu8 v12, v12, v13, v14 neg_lo:[1,1,0]
	flat_store_b32 v[8:9], v12 offset:8
	flat_load_b32 v12, v[4:5]
	flat_load_b32 v13, v[6:7] offset:12
	s_waitcnt vmcnt(0) lgkmcnt(0)
	v_dot4_i32_iu8 v16, v12, v13, v15 neg_lo:[1,1,0]
	flat_load_b128 v[12:15], v[8:9] offset:32
	flat_store_b32 v[8:9], v16 offset:12
	flat_load_b32 v16, v[4:5] offset:4
	flat_load_b32 v17, v[6:7]
	s_waitcnt vmcnt(0) lgkmcnt(0)
	v_dot4_i32_iu8 v12, v16, v17, v12 neg_lo:[1,1,0]
	flat_store_b32 v[8:9], v12 offset:32
	flat_load_b32 v12, v[4:5] offset:4
	flat_load_b32 v16, v[6:7] offset:4
	s_waitcnt vmcnt(0) lgkmcnt(0)
	v_dot4_i32_iu8 v12, v12, v16, v13 neg_lo:[1,1,0]
	flat_store_b32 v[8:9], v12 offset:36
	flat_load_b32 v12, v[4:5] offset:4
	flat_load_b32 v13, v[6:7] offset:8
	s_waitcnt vmcnt(0) lgkmcnt(0)
	v_dot4_i32_iu8 v12, v12, v13, v14 neg_lo:[1,1,0]
	flat_store_b32 v[8:9], v12 offset:40
	flat_load_b32 v12, v[4:5] offset:4
	flat_load_b32 v13, v[6:7] offset:12
	s_waitcnt vmcnt(0) lgkmcnt(0)
	v_dot4_i32_iu8 v16, v12, v13, v15 neg_lo:[1,1,0]
	flat_load_b128 v[12:15], v[8:9] offset:64
	flat_store_b32 v[8:9], v16 offset:44
	flat_load_b32 v16, v[4:5] offset:8
	flat_load_b32 v17, v[6:7]
	s_waitcnt vmcnt(0) lgkmcnt(0)
	v_dot4_i32_iu8 v12, v16, v17, v12 neg_lo:[1,1,0]
	flat_store_b32 v[8:9], v12 offset:64
	flat_load_b32 v12, v[4:5] offset:8
	flat_load_b32 v16, v[6:7] offset:4
	s_waitcnt vmcnt(0) lgkmcnt(0)
	v_dot4_i32_iu8 v12, v12, v16, v13 neg_lo:[1,1,0]
	flat_store_b32 v[8:9], v12 offset:68
	flat_load_b32 v12, v[4:5] offset:8
	flat_load_b32 v13, v[6:7] offset:8
	s_waitcnt vmcnt(0) lgkmcnt(0)
	v_dot4_i32_iu8 v12, v12, v13, v14 neg_lo:[1,1,0]
	flat_store_b32 v[8:9], v12 offset:72
	flat_load_b32 v12, v[4:5] offset:8
	;; [unrolled: 21-line block ×3, first 2 shown]
	flat_load_b32 v13, v[6:7] offset:12
	s_waitcnt vmcnt(0) lgkmcnt(0)
	v_dot4_i32_iu8 v12, v12, v13, v15 neg_lo:[1,1,0]
	flat_store_b32 v[8:9], v12 offset:108
	flat_load_b32 v16, v[4:5]
	flat_load_b32 v17, v[6:7] offset:16
	flat_load_b128 v[12:15], v[8:9] offset:16
	s_waitcnt vmcnt(0) lgkmcnt(0)
	v_dot4_i32_iu8 v12, v16, v17, v12 neg_lo:[1,1,0]
	flat_store_b32 v[8:9], v12 offset:16
	flat_load_b32 v12, v[4:5]
	flat_load_b32 v16, v[6:7] offset:20
	s_waitcnt vmcnt(0) lgkmcnt(0)
	v_dot4_i32_iu8 v12, v12, v16, v13 neg_lo:[1,1,0]
	flat_store_b32 v[8:9], v12 offset:20
	flat_load_b32 v12, v[4:5]
	flat_load_b32 v13, v[6:7] offset:24
	;; [unrolled: 5-line block ×3, first 2 shown]
	s_waitcnt vmcnt(0) lgkmcnt(0)
	v_dot4_i32_iu8 v16, v12, v13, v15 neg_lo:[1,1,0]
	flat_load_b128 v[12:15], v[8:9] offset:48
	flat_store_b32 v[8:9], v16 offset:28
	flat_load_b32 v16, v[4:5] offset:4
	flat_load_b32 v17, v[6:7] offset:16
	s_waitcnt vmcnt(0) lgkmcnt(0)
	v_dot4_i32_iu8 v12, v16, v17, v12 neg_lo:[1,1,0]
	flat_store_b32 v[8:9], v12 offset:48
	flat_load_b32 v12, v[4:5] offset:4
	flat_load_b32 v16, v[6:7] offset:20
	s_waitcnt vmcnt(0) lgkmcnt(0)
	v_dot4_i32_iu8 v12, v12, v16, v13 neg_lo:[1,1,0]
	flat_store_b32 v[8:9], v12 offset:52
	flat_load_b32 v12, v[4:5] offset:4
	flat_load_b32 v13, v[6:7] offset:24
	s_waitcnt vmcnt(0) lgkmcnt(0)
	v_dot4_i32_iu8 v12, v12, v13, v14 neg_lo:[1,1,0]
	flat_store_b32 v[8:9], v12 offset:56
	flat_load_b32 v12, v[4:5] offset:4
	flat_load_b32 v13, v[6:7] offset:28
	s_waitcnt vmcnt(0) lgkmcnt(0)
	v_dot4_i32_iu8 v16, v12, v13, v15 neg_lo:[1,1,0]
	flat_load_b128 v[12:15], v[8:9] offset:80
	flat_store_b32 v[8:9], v16 offset:60
	flat_load_b32 v16, v[4:5] offset:8
	flat_load_b32 v17, v[6:7] offset:16
	s_waitcnt vmcnt(0) lgkmcnt(0)
	v_dot4_i32_iu8 v12, v16, v17, v12 neg_lo:[1,1,0]
	flat_store_b32 v[8:9], v12 offset:80
	flat_load_b32 v12, v[4:5] offset:8
	flat_load_b32 v16, v[6:7] offset:20
	s_waitcnt vmcnt(0) lgkmcnt(0)
	v_dot4_i32_iu8 v12, v12, v16, v13 neg_lo:[1,1,0]
	flat_store_b32 v[8:9], v12 offset:84
	flat_load_b32 v12, v[4:5] offset:8
	flat_load_b32 v13, v[6:7] offset:24
	s_waitcnt vmcnt(0) lgkmcnt(0)
	v_dot4_i32_iu8 v12, v12, v13, v14 neg_lo:[1,1,0]
	flat_store_b32 v[8:9], v12 offset:88
	flat_load_b32 v12, v[4:5] offset:8
	flat_load_b32 v13, v[6:7] offset:28
	;; [unrolled: 21-line block ×3, first 2 shown]
	s_waitcnt vmcnt(0) lgkmcnt(0)
	v_dot4_i32_iu8 v12, v12, v13, v15 neg_lo:[1,1,0]
	flat_store_b32 v[8:9], v12 offset:124
	flat_load_b32 v14, v[0:1] offset:16
	flat_load_b64 v[12:13], v[2:3]
	s_waitcnt vmcnt(1) lgkmcnt(1)
	v_ashrrev_i32_e32 v15, 31, v14
	s_waitcnt vmcnt(0) lgkmcnt(0)
	v_add_co_u32 v12, vcc_lo, v12, v14
	s_delay_alu instid0(VALU_DEP_2) | instskip(NEXT) | instid1(VALU_DEP_2)
	v_add_co_ci_u32_e32 v13, vcc_lo, v13, v15, vcc_lo
	v_add_co_u32 v12, vcc_lo, 0x1000, v12
	s_delay_alu instid0(VALU_DEP_2)
	v_add_co_ci_u32_e32 v13, vcc_lo, 0, v13, vcc_lo
	flat_load_b128 v[12:15], v[12:13] offset:3072
	flat_load_b32 v20, v[4:5] offset:16
	s_waitcnt vmcnt(1) lgkmcnt(1)
	flat_store_b128 v[4:5], v[12:15]
	flat_load_b32 v21, v[6:7]
	s_clause 0x1
	flat_load_b128 v[12:15], v[8:9] offset:128
	flat_load_b128 v[16:19], v[8:9] offset:160
	s_waitcnt vmcnt(1) lgkmcnt(1)
	v_dot4_i32_iu8 v12, v20, v21, v12 neg_lo:[1,1,0]
	flat_store_b32 v[8:9], v12 offset:128
	flat_load_b32 v12, v[4:5] offset:16
	flat_load_b32 v20, v[6:7] offset:4
	s_waitcnt vmcnt(0) lgkmcnt(0)
	v_dot4_i32_iu8 v12, v12, v20, v13 neg_lo:[1,1,0]
	flat_store_b32 v[8:9], v12 offset:132
	flat_load_b32 v12, v[4:5] offset:16
	flat_load_b32 v13, v[6:7] offset:8
	;; [unrolled: 5-line block ×3, first 2 shown]
	s_waitcnt vmcnt(0) lgkmcnt(0)
	v_dot4_i32_iu8 v12, v12, v13, v15 neg_lo:[1,1,0]
	flat_store_b32 v[8:9], v12 offset:140
	flat_load_b32 v12, v[4:5] offset:20
	flat_load_b32 v13, v[6:7]
	s_waitcnt vmcnt(0) lgkmcnt(0)
	v_dot4_i32_iu8 v12, v12, v13, v16 neg_lo:[1,1,0]
	flat_store_b32 v[8:9], v12 offset:160
	flat_load_b32 v12, v[4:5] offset:20
	flat_load_b32 v13, v[6:7] offset:4
	s_waitcnt vmcnt(0) lgkmcnt(0)
	v_dot4_i32_iu8 v12, v12, v13, v17 neg_lo:[1,1,0]
	flat_store_b32 v[8:9], v12 offset:164
	flat_load_b32 v12, v[4:5] offset:20
	flat_load_b32 v13, v[6:7] offset:8
	;; [unrolled: 5-line block ×3, first 2 shown]
	s_waitcnt vmcnt(0) lgkmcnt(0)
	v_dot4_i32_iu8 v12, v12, v13, v19 neg_lo:[1,1,0]
	flat_store_b32 v[8:9], v12 offset:172
	flat_load_b32 v20, v[4:5] offset:24
	flat_load_b32 v21, v[6:7]
	s_clause 0x1
	flat_load_b128 v[12:15], v[8:9] offset:192
	flat_load_b128 v[16:19], v[8:9] offset:224
	s_waitcnt vmcnt(1) lgkmcnt(1)
	v_dot4_i32_iu8 v12, v20, v21, v12 neg_lo:[1,1,0]
	flat_store_b32 v[8:9], v12 offset:192
	flat_load_b32 v12, v[4:5] offset:24
	flat_load_b32 v20, v[6:7] offset:4
	s_waitcnt vmcnt(0) lgkmcnt(0)
	v_dot4_i32_iu8 v12, v12, v20, v13 neg_lo:[1,1,0]
	flat_store_b32 v[8:9], v12 offset:196
	flat_load_b32 v12, v[4:5] offset:24
	flat_load_b32 v13, v[6:7] offset:8
	;; [unrolled: 5-line block ×3, first 2 shown]
	s_waitcnt vmcnt(0) lgkmcnt(0)
	v_dot4_i32_iu8 v12, v12, v13, v15 neg_lo:[1,1,0]
	flat_store_b32 v[8:9], v12 offset:204
	flat_load_b32 v12, v[4:5] offset:28
	flat_load_b32 v13, v[6:7]
	s_waitcnt vmcnt(0) lgkmcnt(0)
	v_dot4_i32_iu8 v12, v12, v13, v16 neg_lo:[1,1,0]
	flat_store_b32 v[8:9], v12 offset:224
	flat_load_b32 v12, v[4:5] offset:28
	flat_load_b32 v13, v[6:7] offset:4
	s_waitcnt vmcnt(0) lgkmcnt(0)
	v_dot4_i32_iu8 v12, v12, v13, v17 neg_lo:[1,1,0]
	flat_store_b32 v[8:9], v12 offset:228
	flat_load_b32 v12, v[4:5] offset:28
	flat_load_b32 v13, v[6:7] offset:8
	;; [unrolled: 5-line block ×3, first 2 shown]
	s_waitcnt vmcnt(0) lgkmcnt(0)
	v_dot4_i32_iu8 v12, v12, v13, v19 neg_lo:[1,1,0]
	flat_store_b32 v[8:9], v12 offset:236
	flat_load_b32 v14, v[0:1] offset:48
	flat_load_b64 v[12:13], v[10:11]
	s_waitcnt vmcnt(1) lgkmcnt(1)
	v_ashrrev_i32_e32 v15, 31, v14
	s_waitcnt vmcnt(0) lgkmcnt(0)
	v_add_co_u32 v12, vcc_lo, v12, v14
	s_delay_alu instid0(VALU_DEP_2) | instskip(NEXT) | instid1(VALU_DEP_2)
	v_add_co_ci_u32_e32 v13, vcc_lo, v13, v15, vcc_lo
	v_add_co_u32 v12, vcc_lo, 0x1000, v12
	s_delay_alu instid0(VALU_DEP_2)
	v_add_co_ci_u32_e32 v13, vcc_lo, 0, v13, vcc_lo
	flat_load_b128 v[12:15], v[12:13] offset:3072
	flat_load_b32 v20, v[6:7] offset:16
	s_waitcnt vmcnt(1) lgkmcnt(1)
	flat_store_b128 v[6:7], v[12:15]
	flat_load_b32 v21, v[4:5] offset:16
	s_clause 0x1
	flat_load_b128 v[12:15], v[8:9] offset:144
	flat_load_b128 v[16:19], v[8:9] offset:176
	s_waitcnt vmcnt(1) lgkmcnt(1)
	v_dot4_i32_iu8 v12, v21, v20, v12 neg_lo:[1,1,0]
	flat_store_b32 v[8:9], v12 offset:144
	flat_load_b32 v12, v[4:5] offset:16
	flat_load_b32 v20, v[6:7] offset:20
	s_waitcnt vmcnt(0) lgkmcnt(0)
	v_dot4_i32_iu8 v12, v12, v20, v13 neg_lo:[1,1,0]
	flat_store_b32 v[8:9], v12 offset:148
	flat_load_b32 v12, v[4:5] offset:16
	flat_load_b32 v13, v[6:7] offset:24
	;; [unrolled: 5-line block ×8, first 2 shown]
	s_clause 0x1
	flat_load_b128 v[12:15], v[8:9] offset:208
	flat_load_b128 v[16:19], v[8:9] offset:240
	s_waitcnt vmcnt(1) lgkmcnt(1)
	v_dot4_i32_iu8 v12, v20, v21, v12 neg_lo:[1,1,0]
	flat_store_b32 v[8:9], v12 offset:208
	flat_load_b32 v12, v[4:5] offset:24
	flat_load_b32 v20, v[6:7] offset:20
	s_waitcnt vmcnt(0) lgkmcnt(0)
	v_dot4_i32_iu8 v12, v12, v20, v13 neg_lo:[1,1,0]
	flat_store_b32 v[8:9], v12 offset:212
	flat_load_b32 v12, v[4:5] offset:24
	flat_load_b32 v13, v[6:7] offset:24
	;; [unrolled: 5-line block ×7, first 2 shown]
	s_waitcnt vmcnt(0) lgkmcnt(0)
	v_dot4_i32_iu8 v12, v12, v13, v19 neg_lo:[1,1,0]
	flat_store_b32 v[8:9], v12 offset:252
	flat_load_b32 v14, v[0:1] offset:48
	flat_load_b64 v[12:13], v[10:11]
	s_waitcnt vmcnt(1) lgkmcnt(1)
	v_ashrrev_i32_e32 v15, 31, v14
	s_waitcnt vmcnt(0) lgkmcnt(0)
	v_add_co_u32 v12, vcc_lo, v12, v14
	s_delay_alu instid0(VALU_DEP_2) | instskip(NEXT) | instid1(VALU_DEP_2)
	v_add_co_ci_u32_e32 v13, vcc_lo, v13, v15, vcc_lo
	v_add_co_u32 v12, vcc_lo, 0x1000, v12
	s_delay_alu instid0(VALU_DEP_2)
	v_add_co_ci_u32_e32 v13, vcc_lo, 0, v13, vcc_lo
	flat_load_b128 v[12:15], v[12:13] offset:3328
	s_waitcnt vmcnt(0) lgkmcnt(0)
	flat_store_b128 v[6:7], v[12:15] offset:16
	flat_load_b32 v14, v[0:1] offset:16
	flat_load_b64 v[12:13], v[2:3]
	s_waitcnt vmcnt(1) lgkmcnt(1)
	v_ashrrev_i32_e32 v15, 31, v14
	s_waitcnt vmcnt(0) lgkmcnt(0)
	v_add_co_u32 v12, vcc_lo, v12, v14
	s_delay_alu instid0(VALU_DEP_2) | instskip(NEXT) | instid1(VALU_DEP_2)
	v_add_co_ci_u32_e32 v13, vcc_lo, v13, v15, vcc_lo
	v_add_co_u32 v12, vcc_lo, 0x1000, v12
	s_delay_alu instid0(VALU_DEP_2)
	v_add_co_ci_u32_e32 v13, vcc_lo, 0, v13, vcc_lo
	flat_load_b128 v[12:15], v[12:13] offset:3328
	flat_load_b32 v20, v[4:5]
	s_waitcnt vmcnt(1) lgkmcnt(1)
	flat_store_b128 v[4:5], v[12:15] offset:16
	flat_load_b32 v21, v[6:7]
	s_clause 0x1
	flat_load_b128 v[12:15], v[8:9]
	flat_load_b128 v[16:19], v[8:9] offset:16
	s_waitcnt vmcnt(1) lgkmcnt(1)
	v_dot4_i32_iu8 v12, v20, v21, v12 neg_lo:[1,1,0]
	flat_store_b32 v[8:9], v12
	flat_load_b32 v12, v[4:5]
	flat_load_b32 v20, v[6:7] offset:4
	s_waitcnt vmcnt(0) lgkmcnt(0)
	v_dot4_i32_iu8 v12, v12, v20, v13 neg_lo:[1,1,0]
	flat_store_b32 v[8:9], v12 offset:4
	flat_load_b32 v12, v[4:5]
	flat_load_b32 v13, v[6:7] offset:8
	s_waitcnt vmcnt(0) lgkmcnt(0)
	v_dot4_i32_iu8 v12, v12, v13, v14 neg_lo:[1,1,0]
	flat_store_b32 v[8:9], v12 offset:8
	;; [unrolled: 5-line block ×3, first 2 shown]
	flat_load_b32 v24, v[4:5] offset:4
	flat_load_b32 v25, v[6:7]
	s_clause 0x1
	flat_load_b128 v[12:15], v[8:9] offset:32
	flat_load_b128 v[20:23], v[8:9] offset:48
	s_waitcnt vmcnt(1) lgkmcnt(1)
	v_dot4_i32_iu8 v12, v24, v25, v12 neg_lo:[1,1,0]
	flat_store_b32 v[8:9], v12 offset:32
	flat_load_b32 v12, v[4:5] offset:4
	flat_load_b32 v24, v[6:7] offset:4
	s_waitcnt vmcnt(0) lgkmcnt(0)
	v_dot4_i32_iu8 v12, v12, v24, v13 neg_lo:[1,1,0]
	flat_store_b32 v[8:9], v12 offset:36
	flat_load_b32 v12, v[4:5] offset:4
	flat_load_b32 v13, v[6:7] offset:8
	s_waitcnt vmcnt(0) lgkmcnt(0)
	v_dot4_i32_iu8 v12, v12, v13, v14 neg_lo:[1,1,0]
	flat_store_b32 v[8:9], v12 offset:40
	flat_load_b32 v12, v[4:5] offset:4
	flat_load_b32 v13, v[6:7] offset:12
	s_waitcnt vmcnt(0) lgkmcnt(0)
	v_dot4_i32_iu8 v12, v12, v13, v15 neg_lo:[1,1,0]
	flat_store_b32 v[8:9], v12 offset:44
	flat_load_b32 v28, v[4:5] offset:8
	flat_load_b32 v29, v[6:7]
	s_clause 0x1
	flat_load_b128 v[12:15], v[8:9] offset:64
	flat_load_b128 v[24:27], v[8:9] offset:80
	s_waitcnt vmcnt(1) lgkmcnt(1)
	v_dot4_i32_iu8 v12, v28, v29, v12 neg_lo:[1,1,0]
	flat_store_b32 v[8:9], v12 offset:64
	flat_load_b32 v12, v[4:5] offset:8
	flat_load_b32 v28, v[6:7] offset:4
	s_waitcnt vmcnt(0) lgkmcnt(0)
	v_dot4_i32_iu8 v12, v12, v28, v13 neg_lo:[1,1,0]
	flat_store_b32 v[8:9], v12 offset:68
	flat_load_b32 v12, v[4:5] offset:8
	flat_load_b32 v13, v[6:7] offset:8
	s_waitcnt vmcnt(0) lgkmcnt(0)
	v_dot4_i32_iu8 v12, v12, v13, v14 neg_lo:[1,1,0]
	flat_store_b32 v[8:9], v12 offset:72
	flat_load_b32 v12, v[4:5] offset:8
	flat_load_b32 v13, v[6:7] offset:12
	s_waitcnt vmcnt(0) lgkmcnt(0)
	v_dot4_i32_iu8 v12, v12, v13, v15 neg_lo:[1,1,0]
	flat_store_b32 v[8:9], v12 offset:76
	flat_load_b32 v32, v[4:5] offset:12
	flat_load_b32 v33, v[6:7]
	s_clause 0x1
	flat_load_b128 v[12:15], v[8:9] offset:96
	flat_load_b128 v[28:31], v[8:9] offset:112
	s_waitcnt vmcnt(1) lgkmcnt(1)
	v_dot4_i32_iu8 v12, v32, v33, v12 neg_lo:[1,1,0]
	flat_store_b32 v[8:9], v12 offset:96
	flat_load_b32 v12, v[4:5] offset:12
	flat_load_b32 v32, v[6:7] offset:4
	s_waitcnt vmcnt(0) lgkmcnt(0)
	v_dot4_i32_iu8 v12, v12, v32, v13 neg_lo:[1,1,0]
	flat_store_b32 v[8:9], v12 offset:100
	flat_load_b32 v12, v[4:5] offset:12
	flat_load_b32 v13, v[6:7] offset:8
	s_waitcnt vmcnt(0) lgkmcnt(0)
	v_dot4_i32_iu8 v12, v12, v13, v14 neg_lo:[1,1,0]
	flat_store_b32 v[8:9], v12 offset:104
	flat_load_b32 v12, v[4:5] offset:12
	flat_load_b32 v13, v[6:7] offset:12
	s_waitcnt vmcnt(0) lgkmcnt(0)
	v_dot4_i32_iu8 v12, v12, v13, v15 neg_lo:[1,1,0]
	flat_store_b32 v[8:9], v12 offset:108
	flat_load_b32 v12, v[4:5]
	flat_load_b32 v13, v[6:7] offset:16
	s_waitcnt vmcnt(0) lgkmcnt(0)
	v_dot4_i32_iu8 v12, v12, v13, v16 neg_lo:[1,1,0]
	flat_store_b32 v[8:9], v12 offset:16
	flat_load_b32 v12, v[4:5]
	flat_load_b32 v13, v[6:7] offset:20
	s_waitcnt vmcnt(0) lgkmcnt(0)
	v_dot4_i32_iu8 v12, v12, v13, v17 neg_lo:[1,1,0]
	flat_store_b32 v[8:9], v12 offset:20
	;; [unrolled: 5-line block ×4, first 2 shown]
	flat_load_b32 v12, v[4:5] offset:4
	flat_load_b32 v13, v[6:7] offset:16
	s_waitcnt vmcnt(0) lgkmcnt(0)
	v_dot4_i32_iu8 v12, v12, v13, v20 neg_lo:[1,1,0]
	flat_store_b32 v[8:9], v12 offset:48
	flat_load_b32 v12, v[4:5] offset:4
	flat_load_b32 v13, v[6:7] offset:20
	s_waitcnt vmcnt(0) lgkmcnt(0)
	v_dot4_i32_iu8 v12, v12, v13, v21 neg_lo:[1,1,0]
	flat_store_b32 v[8:9], v12 offset:52
	;; [unrolled: 5-line block ×12, first 2 shown]
	flat_load_b32 v14, v[0:1] offset:16
	flat_load_b64 v[12:13], v[2:3]
	s_waitcnt vmcnt(1) lgkmcnt(1)
	v_ashrrev_i32_e32 v15, 31, v14
	s_waitcnt vmcnt(0) lgkmcnt(0)
	v_add_co_u32 v12, vcc_lo, v12, v14
	s_delay_alu instid0(VALU_DEP_2) | instskip(NEXT) | instid1(VALU_DEP_2)
	v_add_co_ci_u32_e32 v13, vcc_lo, v13, v15, vcc_lo
	v_add_co_u32 v12, vcc_lo, 0x1000, v12
	s_delay_alu instid0(VALU_DEP_2)
	v_add_co_ci_u32_e32 v13, vcc_lo, 0, v13, vcc_lo
	flat_load_b128 v[12:15], v[12:13] offset:3584
	flat_load_b32 v20, v[4:5] offset:16
	s_waitcnt vmcnt(1) lgkmcnt(1)
	flat_store_b128 v[4:5], v[12:15]
	flat_load_b32 v21, v[6:7]
	s_clause 0x1
	flat_load_b128 v[12:15], v[8:9] offset:128
	flat_load_b128 v[16:19], v[8:9] offset:160
	s_waitcnt vmcnt(1) lgkmcnt(1)
	v_dot4_i32_iu8 v12, v20, v21, v12 neg_lo:[1,1,0]
	flat_store_b32 v[8:9], v12 offset:128
	flat_load_b32 v12, v[4:5] offset:16
	flat_load_b32 v20, v[6:7] offset:4
	s_waitcnt vmcnt(0) lgkmcnt(0)
	v_dot4_i32_iu8 v12, v12, v20, v13 neg_lo:[1,1,0]
	flat_store_b32 v[8:9], v12 offset:132
	flat_load_b32 v12, v[4:5] offset:16
	flat_load_b32 v13, v[6:7] offset:8
	;; [unrolled: 5-line block ×3, first 2 shown]
	s_waitcnt vmcnt(0) lgkmcnt(0)
	v_dot4_i32_iu8 v12, v12, v13, v15 neg_lo:[1,1,0]
	flat_store_b32 v[8:9], v12 offset:140
	flat_load_b32 v12, v[4:5] offset:20
	flat_load_b32 v13, v[6:7]
	s_waitcnt vmcnt(0) lgkmcnt(0)
	v_dot4_i32_iu8 v12, v12, v13, v16 neg_lo:[1,1,0]
	flat_store_b32 v[8:9], v12 offset:160
	flat_load_b32 v12, v[4:5] offset:20
	flat_load_b32 v13, v[6:7] offset:4
	s_waitcnt vmcnt(0) lgkmcnt(0)
	v_dot4_i32_iu8 v12, v12, v13, v17 neg_lo:[1,1,0]
	flat_store_b32 v[8:9], v12 offset:164
	flat_load_b32 v12, v[4:5] offset:20
	flat_load_b32 v13, v[6:7] offset:8
	;; [unrolled: 5-line block ×3, first 2 shown]
	s_waitcnt vmcnt(0) lgkmcnt(0)
	v_dot4_i32_iu8 v12, v12, v13, v19 neg_lo:[1,1,0]
	flat_store_b32 v[8:9], v12 offset:172
	flat_load_b32 v20, v[4:5] offset:24
	flat_load_b32 v21, v[6:7]
	s_clause 0x1
	flat_load_b128 v[12:15], v[8:9] offset:192
	flat_load_b128 v[16:19], v[8:9] offset:224
	s_waitcnt vmcnt(1) lgkmcnt(1)
	v_dot4_i32_iu8 v12, v20, v21, v12 neg_lo:[1,1,0]
	flat_store_b32 v[8:9], v12 offset:192
	flat_load_b32 v12, v[4:5] offset:24
	flat_load_b32 v20, v[6:7] offset:4
	s_waitcnt vmcnt(0) lgkmcnt(0)
	v_dot4_i32_iu8 v12, v12, v20, v13 neg_lo:[1,1,0]
	flat_store_b32 v[8:9], v12 offset:196
	flat_load_b32 v12, v[4:5] offset:24
	flat_load_b32 v13, v[6:7] offset:8
	;; [unrolled: 5-line block ×3, first 2 shown]
	s_waitcnt vmcnt(0) lgkmcnt(0)
	v_dot4_i32_iu8 v12, v12, v13, v15 neg_lo:[1,1,0]
	flat_store_b32 v[8:9], v12 offset:204
	flat_load_b32 v12, v[4:5] offset:28
	flat_load_b32 v13, v[6:7]
	s_waitcnt vmcnt(0) lgkmcnt(0)
	v_dot4_i32_iu8 v12, v12, v13, v16 neg_lo:[1,1,0]
	flat_store_b32 v[8:9], v12 offset:224
	flat_load_b32 v12, v[4:5] offset:28
	flat_load_b32 v13, v[6:7] offset:4
	s_waitcnt vmcnt(0) lgkmcnt(0)
	v_dot4_i32_iu8 v12, v12, v13, v17 neg_lo:[1,1,0]
	flat_store_b32 v[8:9], v12 offset:228
	flat_load_b32 v12, v[4:5] offset:28
	flat_load_b32 v13, v[6:7] offset:8
	s_waitcnt vmcnt(0) lgkmcnt(0)
	v_dot4_i32_iu8 v12, v12, v13, v18 neg_lo:[1,1,0]
	flat_store_b32 v[8:9], v12 offset:232
	flat_load_b32 v12, v[4:5] offset:28
	flat_load_b32 v13, v[6:7] offset:12
	s_waitcnt vmcnt(0) lgkmcnt(0)
	v_dot4_i32_iu8 v12, v12, v13, v19 neg_lo:[1,1,0]
	flat_store_b32 v[8:9], v12 offset:236
	flat_load_b32 v14, v[0:1] offset:48
	flat_load_b64 v[12:13], v[10:11]
	s_waitcnt vmcnt(1) lgkmcnt(1)
	v_ashrrev_i32_e32 v15, 31, v14
	s_waitcnt vmcnt(0) lgkmcnt(0)
	v_add_co_u32 v12, vcc_lo, v12, v14
	s_delay_alu instid0(VALU_DEP_2) | instskip(NEXT) | instid1(VALU_DEP_2)
	v_add_co_ci_u32_e32 v13, vcc_lo, v13, v15, vcc_lo
	v_add_co_u32 v12, vcc_lo, 0x1000, v12
	s_delay_alu instid0(VALU_DEP_2)
	v_add_co_ci_u32_e32 v13, vcc_lo, 0, v13, vcc_lo
	flat_load_b128 v[12:15], v[12:13] offset:3584
	flat_load_b32 v20, v[6:7] offset:16
	s_waitcnt vmcnt(1) lgkmcnt(1)
	flat_store_b128 v[6:7], v[12:15]
	flat_load_b32 v21, v[4:5] offset:16
	s_clause 0x1
	flat_load_b128 v[12:15], v[8:9] offset:144
	flat_load_b128 v[16:19], v[8:9] offset:176
	s_waitcnt vmcnt(1) lgkmcnt(1)
	v_dot4_i32_iu8 v12, v21, v20, v12 neg_lo:[1,1,0]
	flat_store_b32 v[8:9], v12 offset:144
	flat_load_b32 v12, v[4:5] offset:16
	flat_load_b32 v20, v[6:7] offset:20
	s_waitcnt vmcnt(0) lgkmcnt(0)
	v_dot4_i32_iu8 v12, v12, v20, v13 neg_lo:[1,1,0]
	flat_store_b32 v[8:9], v12 offset:148
	flat_load_b32 v12, v[4:5] offset:16
	flat_load_b32 v13, v[6:7] offset:24
	;; [unrolled: 5-line block ×8, first 2 shown]
	s_clause 0x1
	flat_load_b128 v[12:15], v[8:9] offset:208
	flat_load_b128 v[16:19], v[8:9] offset:240
	s_waitcnt vmcnt(1) lgkmcnt(1)
	v_dot4_i32_iu8 v12, v20, v21, v12 neg_lo:[1,1,0]
	flat_store_b32 v[8:9], v12 offset:208
	flat_load_b32 v12, v[4:5] offset:24
	flat_load_b32 v20, v[6:7] offset:20
	s_waitcnt vmcnt(0) lgkmcnt(0)
	v_dot4_i32_iu8 v12, v12, v20, v13 neg_lo:[1,1,0]
	flat_store_b32 v[8:9], v12 offset:212
	flat_load_b32 v12, v[4:5] offset:24
	flat_load_b32 v13, v[6:7] offset:24
	;; [unrolled: 5-line block ×7, first 2 shown]
	s_waitcnt vmcnt(0) lgkmcnt(0)
	v_dot4_i32_iu8 v12, v12, v13, v19 neg_lo:[1,1,0]
	flat_store_b32 v[8:9], v12 offset:252
	flat_load_b32 v12, v[0:1] offset:48
	flat_load_b64 v[10:11], v[10:11]
	s_waitcnt vmcnt(1) lgkmcnt(1)
	v_ashrrev_i32_e32 v13, 31, v12
	s_waitcnt vmcnt(0) lgkmcnt(0)
	v_add_co_u32 v10, vcc_lo, v10, v12
	s_delay_alu instid0(VALU_DEP_2) | instskip(NEXT) | instid1(VALU_DEP_2)
	v_add_co_ci_u32_e32 v11, vcc_lo, v11, v13, vcc_lo
	v_add_co_u32 v10, vcc_lo, 0x1000, v10
	s_delay_alu instid0(VALU_DEP_2)
	v_add_co_ci_u32_e32 v11, vcc_lo, 0, v11, vcc_lo
	flat_load_b128 v[10:13], v[10:11] offset:3840
	s_waitcnt vmcnt(0) lgkmcnt(0)
	flat_store_b128 v[6:7], v[10:13] offset:16
	flat_load_b32 v10, v[0:1] offset:16
	flat_load_b64 v[0:1], v[2:3]
	s_waitcnt vmcnt(1) lgkmcnt(1)
	v_ashrrev_i32_e32 v2, 31, v10
	s_waitcnt vmcnt(0) lgkmcnt(0)
	v_add_co_u32 v0, vcc_lo, v0, v10
	s_delay_alu instid0(VALU_DEP_2) | instskip(NEXT) | instid1(VALU_DEP_2)
	v_add_co_ci_u32_e32 v1, vcc_lo, v1, v2, vcc_lo
	v_add_co_u32 v0, vcc_lo, 0x1000, v0
	s_delay_alu instid0(VALU_DEP_2)
	v_add_co_ci_u32_e32 v1, vcc_lo, 0, v1, vcc_lo
	flat_load_b128 v[0:3], v[0:1] offset:3840
	flat_load_b32 v14, v[4:5]
	s_waitcnt vmcnt(1) lgkmcnt(1)
	flat_store_b128 v[4:5], v[0:3] offset:16
	flat_load_b32 v15, v[6:7]
	s_clause 0x1
	flat_load_b128 v[0:3], v[8:9]
	flat_load_b128 v[10:13], v[8:9] offset:16
	s_waitcnt vmcnt(1) lgkmcnt(1)
	v_dot4_i32_iu8 v0, v14, v15, v0 neg_lo:[1,1,0]
	flat_store_b32 v[8:9], v0
	flat_load_b32 v0, v[4:5]
	flat_load_b32 v14, v[6:7] offset:4
	s_waitcnt vmcnt(0) lgkmcnt(0)
	v_dot4_i32_iu8 v0, v0, v14, v1 neg_lo:[1,1,0]
	flat_store_b32 v[8:9], v0 offset:4
	flat_load_b32 v0, v[4:5]
	flat_load_b32 v1, v[6:7] offset:8
	s_waitcnt vmcnt(0) lgkmcnt(0)
	v_dot4_i32_iu8 v0, v0, v1, v2 neg_lo:[1,1,0]
	flat_store_b32 v[8:9], v0 offset:8
	;; [unrolled: 5-line block ×3, first 2 shown]
	flat_load_b32 v18, v[4:5] offset:4
	flat_load_b32 v19, v[6:7]
	s_clause 0x1
	flat_load_b128 v[0:3], v[8:9] offset:32
	flat_load_b128 v[14:17], v[8:9] offset:48
	s_waitcnt vmcnt(1) lgkmcnt(1)
	v_dot4_i32_iu8 v0, v18, v19, v0 neg_lo:[1,1,0]
	flat_store_b32 v[8:9], v0 offset:32
	flat_load_b32 v0, v[4:5] offset:4
	flat_load_b32 v18, v[6:7] offset:4
	s_waitcnt vmcnt(0) lgkmcnt(0)
	v_dot4_i32_iu8 v0, v0, v18, v1 neg_lo:[1,1,0]
	flat_store_b32 v[8:9], v0 offset:36
	flat_load_b32 v0, v[4:5] offset:4
	flat_load_b32 v1, v[6:7] offset:8
	s_waitcnt vmcnt(0) lgkmcnt(0)
	v_dot4_i32_iu8 v0, v0, v1, v2 neg_lo:[1,1,0]
	flat_store_b32 v[8:9], v0 offset:40
	flat_load_b32 v0, v[4:5] offset:4
	flat_load_b32 v1, v[6:7] offset:12
	s_waitcnt vmcnt(0) lgkmcnt(0)
	v_dot4_i32_iu8 v0, v0, v1, v3 neg_lo:[1,1,0]
	flat_store_b32 v[8:9], v0 offset:44
	flat_load_b32 v22, v[4:5] offset:8
	flat_load_b32 v23, v[6:7]
	s_clause 0x1
	flat_load_b128 v[0:3], v[8:9] offset:64
	flat_load_b128 v[18:21], v[8:9] offset:80
	s_waitcnt vmcnt(1) lgkmcnt(1)
	v_dot4_i32_iu8 v0, v22, v23, v0 neg_lo:[1,1,0]
	flat_store_b32 v[8:9], v0 offset:64
	flat_load_b32 v0, v[4:5] offset:8
	flat_load_b32 v22, v[6:7] offset:4
	s_waitcnt vmcnt(0) lgkmcnt(0)
	v_dot4_i32_iu8 v0, v0, v22, v1 neg_lo:[1,1,0]
	flat_store_b32 v[8:9], v0 offset:68
	flat_load_b32 v0, v[4:5] offset:8
	flat_load_b32 v1, v[6:7] offset:8
	s_waitcnt vmcnt(0) lgkmcnt(0)
	v_dot4_i32_iu8 v0, v0, v1, v2 neg_lo:[1,1,0]
	flat_store_b32 v[8:9], v0 offset:72
	flat_load_b32 v0, v[4:5] offset:8
	flat_load_b32 v1, v[6:7] offset:12
	s_waitcnt vmcnt(0) lgkmcnt(0)
	v_dot4_i32_iu8 v0, v0, v1, v3 neg_lo:[1,1,0]
	flat_store_b32 v[8:9], v0 offset:76
	;; [unrolled: 23-line block ×3, first 2 shown]
	flat_load_b32 v0, v[4:5]
	flat_load_b32 v1, v[6:7] offset:16
	s_waitcnt vmcnt(0) lgkmcnt(0)
	v_dot4_i32_iu8 v0, v0, v1, v10 neg_lo:[1,1,0]
	flat_store_b32 v[8:9], v0 offset:16
	flat_load_b32 v0, v[4:5]
	flat_load_b32 v1, v[6:7] offset:20
	s_waitcnt vmcnt(0) lgkmcnt(0)
	v_dot4_i32_iu8 v0, v0, v1, v11 neg_lo:[1,1,0]
	flat_store_b32 v[8:9], v0 offset:20
	;; [unrolled: 5-line block ×4, first 2 shown]
	flat_load_b32 v0, v[4:5] offset:4
	flat_load_b32 v1, v[6:7] offset:16
	s_waitcnt vmcnt(0) lgkmcnt(0)
	v_dot4_i32_iu8 v0, v0, v1, v14 neg_lo:[1,1,0]
	flat_store_b32 v[8:9], v0 offset:48
	flat_load_b32 v0, v[4:5] offset:4
	flat_load_b32 v1, v[6:7] offset:20
	s_waitcnt vmcnt(0) lgkmcnt(0)
	v_dot4_i32_iu8 v0, v0, v1, v15 neg_lo:[1,1,0]
	flat_store_b32 v[8:9], v0 offset:52
	;; [unrolled: 5-line block ×12, first 2 shown]
	s_waitcnt lgkmcnt(0)
	s_setpc_b64 s[30:31]
.Lfunc_end1:
	.size	_ZNK2ck6detail15static_for_implINS_8SequenceIJLi1ELi2ELi3ELi4ELi5ELi6ELi7ELi8ELi9ELi10ELi11ELi12ELi13ELi14ELi15EEEEEclIZNKS_80BlockwiseGemmDl_A_BK0_BM_BK1_B_BK0_BN_BK1_C_BM0_BM1_BN0_BN1_pipeline_BM0_2_BN0_2ILi256EaaiKNS_16TensorDescriptorINS_5TupleIJNS_5EmbedINS8_IJNS_17integral_constantIiLi16EEENSA_IiLi128EEENSA_IiLi4EEEEEENS8_IJNSA_IiLi512EEESD_NSA_IiLi1EEEEEELb0EEEEEENS8_IJNS2_IJLi0EEEEEEENS8_IJNS2_IJLi1ELi2ELi3EEEEEEESM_NSA_IlLl8192EEEEESQ_Li4ELi4ELi1ENS2_IJLi8ELi2EEEESR_Li4ELi4ELb0EE3RunINS7_INS8_IJNS_7UnMergeINS8_IJNSA_IiLi2EEESD_SV_SD_EEELb0EEEEEESL_NS8_IJNS2_IJLi1ELi2ELi3ELi4EEEEEEESZ_NSA_IlLl64EEEEENS_13DynamicBufferILNS_16AddressSpaceEnumE2EaSO_Lb1ELNS_22AmdBufferCoherenceEnumE0EiEES16_NS_12StaticBufferILS14_4EiLi64ELb1EEEEEvRKT_RKT0_RKT1_RT2_EUlS19_E_EEvS19_, .Lfunc_end1-_ZNK2ck6detail15static_for_implINS_8SequenceIJLi1ELi2ELi3ELi4ELi5ELi6ELi7ELi8ELi9ELi10ELi11ELi12ELi13ELi14ELi15EEEEEclIZNKS_80BlockwiseGemmDl_A_BK0_BM_BK1_B_BK0_BN_BK1_C_BM0_BM1_BN0_BN1_pipeline_BM0_2_BN0_2ILi256EaaiKNS_16TensorDescriptorINS_5TupleIJNS_5EmbedINS8_IJNS_17integral_constantIiLi16EEENSA_IiLi128EEENSA_IiLi4EEEEEENS8_IJNSA_IiLi512EEESD_NSA_IiLi1EEEEEELb0EEEEEENS8_IJNS2_IJLi0EEEEEEENS8_IJNS2_IJLi1ELi2ELi3EEEEEEESM_NSA_IlLl8192EEEEESQ_Li4ELi4ELi1ENS2_IJLi8ELi2EEEESR_Li4ELi4ELb0EE3RunINS7_INS8_IJNS_7UnMergeINS8_IJNSA_IiLi2EEESD_SV_SD_EEELb0EEEEEESL_NS8_IJNS2_IJLi1ELi2ELi3ELi4EEEEEEESZ_NSA_IlLl64EEEEENS_13DynamicBufferILNS_16AddressSpaceEnumE2EaSO_Lb1ELNS_22AmdBufferCoherenceEnumE0EiEES16_NS_12StaticBufferILS14_4EiLi64ELb1EEEEEvRKT_RKT0_RKT1_RT2_EUlS19_E_EEvS19_
                                        ; -- End function
	.section	.AMDGPU.csdata,"",@progbits
; Function info:
; codeLenInByte = 41420
; NumSgprs: 34
; NumVgprs: 34
; ScratchSize: 0
; MemoryBound: 0
	.section	.text._ZN2ck16tensor_operation6device12_GLOBAL__N_137kernel_grouped_conv_fwd_dl_multiple_dINS_32GridwiseGemmDlMultipleD_km_kn_mnILi256EaiNS_5TupleIJaEEEaNS0_12element_wise11PassThroughES8_NS7_7AddReluELNS_25InMemoryDataOperationEnumE0ENS_16TensorDescriptorINS5_IJNS_5EmbedINS5_IJiiiEEESD_Lb0EEENS_11PassThroughIiEENS_3PadIiiiLb0EEESG_SG_NSC_INS5_IJiiEEESJ_Lb0EEESG_NS_23Merge_v2_magic_divisionISJ_EESM_NS_8RightPadIiiLb0EEESO_NS_7UnMergeISJ_Lb0EEESG_EEENS5_IJNS_8SequenceIJLi0EEEENSS_IJLi1EEEENSS_IJLi2EEEENSS_IJLi3EEEENSS_IJLi4EEEENSS_IJLi5EEEENSS_IJLi6EEEENSS_IJLi7ELi9EEEENSS_IJLi8ELi10EEEENSS_IJLi11EEEENSS_IJLi12EEEENSS_IJLi14EEEENSS_IJLi13EEEEEEENS5_IJNSS_IJLi1ELi2ELi3EEEESX_SY_SZ_NSS_IJLi7EEEENSS_IJLi8ELi9EEEENSS_IJLi10EEEES12_S13_S15_S14_NSS_IJLi15ELi16EEEENSS_IJLi17EEEEEEENSS_IJLi15ELi17ELi16EEEElEENSB_INS5_IJSQ_SO_SO_SQ_SG_EEENS5_IJST_SU_SV_SX_SW_EEENS5_IJNSS_IJLi1ELi2EEEESW_SX_NSS_IJLi5ELi6EEEES18_EEENSS_IJLi5ELi7ELi6EEEElEENSB_INS5_IJSK_SO_SO_EEENS5_IJST_SU_SV_EEENS5_IJS1I_SW_SX_EEENSS_IJLi3ELi4EEEElEELi128ELi128ELi16ELi4ELi4ELi4ELi1ENSS_IJLi8ELi2EEEES1S_NSS_IJLi8ELi1ELi1ELi4EEEENSS_IJLi2ELi1ELi128ELi1EEEENSS_IJLi1ELi2ELi0ELi3EEEES1V_NSS_IJLi4ELi1ELi1ELi4EEEES1V_NSS_IJLi1ELi1ELi1ELi4EEEES1T_S1U_S1V_S1V_S1W_S1V_S1X_NSS_IJLi0ELi1ELi2ELi3ELi4ELi5EEEELi5ELi4EEEaNS5_IJPKaEEEaS8_S8_S9_NSB_INS5_IJSE_SG_SI_SG_SG_SK_SG_SM_SM_SO_SO_SQ_SG_SG_NSP_INS5_IJiNS_17integral_constantIiLi128EEEEEELb0EEENSF_INS23_IiLi4EEEEEEEENS5_IJST_SU_SV_SW_SX_SY_SZ_S10_S11_S12_S13_S14_S15_NSS_IJLi15EEEES1C_NSS_IJLi16EEEEEEENS5_IJS17_SX_SY_SZ_S18_S19_S1A_S12_S13_S15_S14_S1B_S1C_NSS_IJLi18EEEENSS_IJLi19ELi20EEEENSS_IJLi21EEEEEEENSS_IJLi18ELi19ELi20ELi21EEEElEENSB_INS5_IJSQ_SO_SO_SQ_SG_SG_S26_S28_EEENS5_IJST_SU_SV_SX_SW_SY_S18_SZ_EEENS5_IJS1I_SW_SX_S1J_S18_NSS_IJLi8EEEENSS_IJLi9ELi10EEEES12_EEENSS_IJLi8ELi9ELi10ELi11EEEElEENS5_IJNSB_INS5_IJSK_SO_SO_NSP_INS5_IJiNS23_IiLi2EEENS23_IiLi64EEEEEELb0EEES2T_EEENS5_IJST_SU_SV_SW_SX_EEENS5_IJS1I_SW_SX_NSS_IJLi5ELi6ELi7EEEENSS_IJLi8ELi9ELi10EEEEEEENSS_IJLi5ELi6ELi7ELi8ELi9ELi10EEEElEEEEES30_NS_31BlockToCTileMap_M00_N00_M01_N01ILi128ELi128ES1R_Lb0EEENS1_30ComputePtrOffsetOfStridedBatchILi1ELi1ELi1EvEELb1ELb1EEEvPKT0_S38_T1_PT2_T3_T4_T5_iT6_T7_T8_T9_T10_T11_,"axG",@progbits,_ZN2ck16tensor_operation6device12_GLOBAL__N_137kernel_grouped_conv_fwd_dl_multiple_dINS_32GridwiseGemmDlMultipleD_km_kn_mnILi256EaiNS_5TupleIJaEEEaNS0_12element_wise11PassThroughES8_NS7_7AddReluELNS_25InMemoryDataOperationEnumE0ENS_16TensorDescriptorINS5_IJNS_5EmbedINS5_IJiiiEEESD_Lb0EEENS_11PassThroughIiEENS_3PadIiiiLb0EEESG_SG_NSC_INS5_IJiiEEESJ_Lb0EEESG_NS_23Merge_v2_magic_divisionISJ_EESM_NS_8RightPadIiiLb0EEESO_NS_7UnMergeISJ_Lb0EEESG_EEENS5_IJNS_8SequenceIJLi0EEEENSS_IJLi1EEEENSS_IJLi2EEEENSS_IJLi3EEEENSS_IJLi4EEEENSS_IJLi5EEEENSS_IJLi6EEEENSS_IJLi7ELi9EEEENSS_IJLi8ELi10EEEENSS_IJLi11EEEENSS_IJLi12EEEENSS_IJLi14EEEENSS_IJLi13EEEEEEENS5_IJNSS_IJLi1ELi2ELi3EEEESX_SY_SZ_NSS_IJLi7EEEENSS_IJLi8ELi9EEEENSS_IJLi10EEEES12_S13_S15_S14_NSS_IJLi15ELi16EEEENSS_IJLi17EEEEEEENSS_IJLi15ELi17ELi16EEEElEENSB_INS5_IJSQ_SO_SO_SQ_SG_EEENS5_IJST_SU_SV_SX_SW_EEENS5_IJNSS_IJLi1ELi2EEEESW_SX_NSS_IJLi5ELi6EEEES18_EEENSS_IJLi5ELi7ELi6EEEElEENSB_INS5_IJSK_SO_SO_EEENS5_IJST_SU_SV_EEENS5_IJS1I_SW_SX_EEENSS_IJLi3ELi4EEEElEELi128ELi128ELi16ELi4ELi4ELi4ELi1ENSS_IJLi8ELi2EEEES1S_NSS_IJLi8ELi1ELi1ELi4EEEENSS_IJLi2ELi1ELi128ELi1EEEENSS_IJLi1ELi2ELi0ELi3EEEES1V_NSS_IJLi4ELi1ELi1ELi4EEEES1V_NSS_IJLi1ELi1ELi1ELi4EEEES1T_S1U_S1V_S1V_S1W_S1V_S1X_NSS_IJLi0ELi1ELi2ELi3ELi4ELi5EEEELi5ELi4EEEaNS5_IJPKaEEEaS8_S8_S9_NSB_INS5_IJSE_SG_SI_SG_SG_SK_SG_SM_SM_SO_SO_SQ_SG_SG_NSP_INS5_IJiNS_17integral_constantIiLi128EEEEEELb0EEENSF_INS23_IiLi4EEEEEEEENS5_IJST_SU_SV_SW_SX_SY_SZ_S10_S11_S12_S13_S14_S15_NSS_IJLi15EEEES1C_NSS_IJLi16EEEEEEENS5_IJS17_SX_SY_SZ_S18_S19_S1A_S12_S13_S15_S14_S1B_S1C_NSS_IJLi18EEEENSS_IJLi19ELi20EEEENSS_IJLi21EEEEEEENSS_IJLi18ELi19ELi20ELi21EEEElEENSB_INS5_IJSQ_SO_SO_SQ_SG_SG_S26_S28_EEENS5_IJST_SU_SV_SX_SW_SY_S18_SZ_EEENS5_IJS1I_SW_SX_S1J_S18_NSS_IJLi8EEEENSS_IJLi9ELi10EEEES12_EEENSS_IJLi8ELi9ELi10ELi11EEEElEENS5_IJNSB_INS5_IJSK_SO_SO_NSP_INS5_IJiNS23_IiLi2EEENS23_IiLi64EEEEEELb0EEES2T_EEENS5_IJST_SU_SV_SW_SX_EEENS5_IJS1I_SW_SX_NSS_IJLi5ELi6ELi7EEEENSS_IJLi8ELi9ELi10EEEEEEENSS_IJLi5ELi6ELi7ELi8ELi9ELi10EEEElEEEEES30_NS_31BlockToCTileMap_M00_N00_M01_N01ILi128ELi128ES1R_Lb0EEENS1_30ComputePtrOffsetOfStridedBatchILi1ELi1ELi1EvEELb1ELb1EEEvPKT0_S38_T1_PT2_T3_T4_T5_iT6_T7_T8_T9_T10_T11_,comdat
	.globl	_ZN2ck16tensor_operation6device12_GLOBAL__N_137kernel_grouped_conv_fwd_dl_multiple_dINS_32GridwiseGemmDlMultipleD_km_kn_mnILi256EaiNS_5TupleIJaEEEaNS0_12element_wise11PassThroughES8_NS7_7AddReluELNS_25InMemoryDataOperationEnumE0ENS_16TensorDescriptorINS5_IJNS_5EmbedINS5_IJiiiEEESD_Lb0EEENS_11PassThroughIiEENS_3PadIiiiLb0EEESG_SG_NSC_INS5_IJiiEEESJ_Lb0EEESG_NS_23Merge_v2_magic_divisionISJ_EESM_NS_8RightPadIiiLb0EEESO_NS_7UnMergeISJ_Lb0EEESG_EEENS5_IJNS_8SequenceIJLi0EEEENSS_IJLi1EEEENSS_IJLi2EEEENSS_IJLi3EEEENSS_IJLi4EEEENSS_IJLi5EEEENSS_IJLi6EEEENSS_IJLi7ELi9EEEENSS_IJLi8ELi10EEEENSS_IJLi11EEEENSS_IJLi12EEEENSS_IJLi14EEEENSS_IJLi13EEEEEEENS5_IJNSS_IJLi1ELi2ELi3EEEESX_SY_SZ_NSS_IJLi7EEEENSS_IJLi8ELi9EEEENSS_IJLi10EEEES12_S13_S15_S14_NSS_IJLi15ELi16EEEENSS_IJLi17EEEEEEENSS_IJLi15ELi17ELi16EEEElEENSB_INS5_IJSQ_SO_SO_SQ_SG_EEENS5_IJST_SU_SV_SX_SW_EEENS5_IJNSS_IJLi1ELi2EEEESW_SX_NSS_IJLi5ELi6EEEES18_EEENSS_IJLi5ELi7ELi6EEEElEENSB_INS5_IJSK_SO_SO_EEENS5_IJST_SU_SV_EEENS5_IJS1I_SW_SX_EEENSS_IJLi3ELi4EEEElEELi128ELi128ELi16ELi4ELi4ELi4ELi1ENSS_IJLi8ELi2EEEES1S_NSS_IJLi8ELi1ELi1ELi4EEEENSS_IJLi2ELi1ELi128ELi1EEEENSS_IJLi1ELi2ELi0ELi3EEEES1V_NSS_IJLi4ELi1ELi1ELi4EEEES1V_NSS_IJLi1ELi1ELi1ELi4EEEES1T_S1U_S1V_S1V_S1W_S1V_S1X_NSS_IJLi0ELi1ELi2ELi3ELi4ELi5EEEELi5ELi4EEEaNS5_IJPKaEEEaS8_S8_S9_NSB_INS5_IJSE_SG_SI_SG_SG_SK_SG_SM_SM_SO_SO_SQ_SG_SG_NSP_INS5_IJiNS_17integral_constantIiLi128EEEEEELb0EEENSF_INS23_IiLi4EEEEEEEENS5_IJST_SU_SV_SW_SX_SY_SZ_S10_S11_S12_S13_S14_S15_NSS_IJLi15EEEES1C_NSS_IJLi16EEEEEEENS5_IJS17_SX_SY_SZ_S18_S19_S1A_S12_S13_S15_S14_S1B_S1C_NSS_IJLi18EEEENSS_IJLi19ELi20EEEENSS_IJLi21EEEEEEENSS_IJLi18ELi19ELi20ELi21EEEElEENSB_INS5_IJSQ_SO_SO_SQ_SG_SG_S26_S28_EEENS5_IJST_SU_SV_SX_SW_SY_S18_SZ_EEENS5_IJS1I_SW_SX_S1J_S18_NSS_IJLi8EEEENSS_IJLi9ELi10EEEES12_EEENSS_IJLi8ELi9ELi10ELi11EEEElEENS5_IJNSB_INS5_IJSK_SO_SO_NSP_INS5_IJiNS23_IiLi2EEENS23_IiLi64EEEEEELb0EEES2T_EEENS5_IJST_SU_SV_SW_SX_EEENS5_IJS1I_SW_SX_NSS_IJLi5ELi6ELi7EEEENSS_IJLi8ELi9ELi10EEEEEEENSS_IJLi5ELi6ELi7ELi8ELi9ELi10EEEElEEEEES30_NS_31BlockToCTileMap_M00_N00_M01_N01ILi128ELi128ES1R_Lb0EEENS1_30ComputePtrOffsetOfStridedBatchILi1ELi1ELi1EvEELb1ELb1EEEvPKT0_S38_T1_PT2_T3_T4_T5_iT6_T7_T8_T9_T10_T11_ ; -- Begin function _ZN2ck16tensor_operation6device12_GLOBAL__N_137kernel_grouped_conv_fwd_dl_multiple_dINS_32GridwiseGemmDlMultipleD_km_kn_mnILi256EaiNS_5TupleIJaEEEaNS0_12element_wise11PassThroughES8_NS7_7AddReluELNS_25InMemoryDataOperationEnumE0ENS_16TensorDescriptorINS5_IJNS_5EmbedINS5_IJiiiEEESD_Lb0EEENS_11PassThroughIiEENS_3PadIiiiLb0EEESG_SG_NSC_INS5_IJiiEEESJ_Lb0EEESG_NS_23Merge_v2_magic_divisionISJ_EESM_NS_8RightPadIiiLb0EEESO_NS_7UnMergeISJ_Lb0EEESG_EEENS5_IJNS_8SequenceIJLi0EEEENSS_IJLi1EEEENSS_IJLi2EEEENSS_IJLi3EEEENSS_IJLi4EEEENSS_IJLi5EEEENSS_IJLi6EEEENSS_IJLi7ELi9EEEENSS_IJLi8ELi10EEEENSS_IJLi11EEEENSS_IJLi12EEEENSS_IJLi14EEEENSS_IJLi13EEEEEEENS5_IJNSS_IJLi1ELi2ELi3EEEESX_SY_SZ_NSS_IJLi7EEEENSS_IJLi8ELi9EEEENSS_IJLi10EEEES12_S13_S15_S14_NSS_IJLi15ELi16EEEENSS_IJLi17EEEEEEENSS_IJLi15ELi17ELi16EEEElEENSB_INS5_IJSQ_SO_SO_SQ_SG_EEENS5_IJST_SU_SV_SX_SW_EEENS5_IJNSS_IJLi1ELi2EEEESW_SX_NSS_IJLi5ELi6EEEES18_EEENSS_IJLi5ELi7ELi6EEEElEENSB_INS5_IJSK_SO_SO_EEENS5_IJST_SU_SV_EEENS5_IJS1I_SW_SX_EEENSS_IJLi3ELi4EEEElEELi128ELi128ELi16ELi4ELi4ELi4ELi1ENSS_IJLi8ELi2EEEES1S_NSS_IJLi8ELi1ELi1ELi4EEEENSS_IJLi2ELi1ELi128ELi1EEEENSS_IJLi1ELi2ELi0ELi3EEEES1V_NSS_IJLi4ELi1ELi1ELi4EEEES1V_NSS_IJLi1ELi1ELi1ELi4EEEES1T_S1U_S1V_S1V_S1W_S1V_S1X_NSS_IJLi0ELi1ELi2ELi3ELi4ELi5EEEELi5ELi4EEEaNS5_IJPKaEEEaS8_S8_S9_NSB_INS5_IJSE_SG_SI_SG_SG_SK_SG_SM_SM_SO_SO_SQ_SG_SG_NSP_INS5_IJiNS_17integral_constantIiLi128EEEEEELb0EEENSF_INS23_IiLi4EEEEEEEENS5_IJST_SU_SV_SW_SX_SY_SZ_S10_S11_S12_S13_S14_S15_NSS_IJLi15EEEES1C_NSS_IJLi16EEEEEEENS5_IJS17_SX_SY_SZ_S18_S19_S1A_S12_S13_S15_S14_S1B_S1C_NSS_IJLi18EEEENSS_IJLi19ELi20EEEENSS_IJLi21EEEEEEENSS_IJLi18ELi19ELi20ELi21EEEElEENSB_INS5_IJSQ_SO_SO_SQ_SG_SG_S26_S28_EEENS5_IJST_SU_SV_SX_SW_SY_S18_SZ_EEENS5_IJS1I_SW_SX_S1J_S18_NSS_IJLi8EEEENSS_IJLi9ELi10EEEES12_EEENSS_IJLi8ELi9ELi10ELi11EEEElEENS5_IJNSB_INS5_IJSK_SO_SO_NSP_INS5_IJiNS23_IiLi2EEENS23_IiLi64EEEEEELb0EEES2T_EEENS5_IJST_SU_SV_SW_SX_EEENS5_IJS1I_SW_SX_NSS_IJLi5ELi6ELi7EEEENSS_IJLi8ELi9ELi10EEEEEEENSS_IJLi5ELi6ELi7ELi8ELi9ELi10EEEElEEEEES30_NS_31BlockToCTileMap_M00_N00_M01_N01ILi128ELi128ES1R_Lb0EEENS1_30ComputePtrOffsetOfStridedBatchILi1ELi1ELi1EvEELb1ELb1EEEvPKT0_S38_T1_PT2_T3_T4_T5_iT6_T7_T8_T9_T10_T11_
	.p2align	8
	.type	_ZN2ck16tensor_operation6device12_GLOBAL__N_137kernel_grouped_conv_fwd_dl_multiple_dINS_32GridwiseGemmDlMultipleD_km_kn_mnILi256EaiNS_5TupleIJaEEEaNS0_12element_wise11PassThroughES8_NS7_7AddReluELNS_25InMemoryDataOperationEnumE0ENS_16TensorDescriptorINS5_IJNS_5EmbedINS5_IJiiiEEESD_Lb0EEENS_11PassThroughIiEENS_3PadIiiiLb0EEESG_SG_NSC_INS5_IJiiEEESJ_Lb0EEESG_NS_23Merge_v2_magic_divisionISJ_EESM_NS_8RightPadIiiLb0EEESO_NS_7UnMergeISJ_Lb0EEESG_EEENS5_IJNS_8SequenceIJLi0EEEENSS_IJLi1EEEENSS_IJLi2EEEENSS_IJLi3EEEENSS_IJLi4EEEENSS_IJLi5EEEENSS_IJLi6EEEENSS_IJLi7ELi9EEEENSS_IJLi8ELi10EEEENSS_IJLi11EEEENSS_IJLi12EEEENSS_IJLi14EEEENSS_IJLi13EEEEEEENS5_IJNSS_IJLi1ELi2ELi3EEEESX_SY_SZ_NSS_IJLi7EEEENSS_IJLi8ELi9EEEENSS_IJLi10EEEES12_S13_S15_S14_NSS_IJLi15ELi16EEEENSS_IJLi17EEEEEEENSS_IJLi15ELi17ELi16EEEElEENSB_INS5_IJSQ_SO_SO_SQ_SG_EEENS5_IJST_SU_SV_SX_SW_EEENS5_IJNSS_IJLi1ELi2EEEESW_SX_NSS_IJLi5ELi6EEEES18_EEENSS_IJLi5ELi7ELi6EEEElEENSB_INS5_IJSK_SO_SO_EEENS5_IJST_SU_SV_EEENS5_IJS1I_SW_SX_EEENSS_IJLi3ELi4EEEElEELi128ELi128ELi16ELi4ELi4ELi4ELi1ENSS_IJLi8ELi2EEEES1S_NSS_IJLi8ELi1ELi1ELi4EEEENSS_IJLi2ELi1ELi128ELi1EEEENSS_IJLi1ELi2ELi0ELi3EEEES1V_NSS_IJLi4ELi1ELi1ELi4EEEES1V_NSS_IJLi1ELi1ELi1ELi4EEEES1T_S1U_S1V_S1V_S1W_S1V_S1X_NSS_IJLi0ELi1ELi2ELi3ELi4ELi5EEEELi5ELi4EEEaNS5_IJPKaEEEaS8_S8_S9_NSB_INS5_IJSE_SG_SI_SG_SG_SK_SG_SM_SM_SO_SO_SQ_SG_SG_NSP_INS5_IJiNS_17integral_constantIiLi128EEEEEELb0EEENSF_INS23_IiLi4EEEEEEEENS5_IJST_SU_SV_SW_SX_SY_SZ_S10_S11_S12_S13_S14_S15_NSS_IJLi15EEEES1C_NSS_IJLi16EEEEEEENS5_IJS17_SX_SY_SZ_S18_S19_S1A_S12_S13_S15_S14_S1B_S1C_NSS_IJLi18EEEENSS_IJLi19ELi20EEEENSS_IJLi21EEEEEEENSS_IJLi18ELi19ELi20ELi21EEEElEENSB_INS5_IJSQ_SO_SO_SQ_SG_SG_S26_S28_EEENS5_IJST_SU_SV_SX_SW_SY_S18_SZ_EEENS5_IJS1I_SW_SX_S1J_S18_NSS_IJLi8EEEENSS_IJLi9ELi10EEEES12_EEENSS_IJLi8ELi9ELi10ELi11EEEElEENS5_IJNSB_INS5_IJSK_SO_SO_NSP_INS5_IJiNS23_IiLi2EEENS23_IiLi64EEEEEELb0EEES2T_EEENS5_IJST_SU_SV_SW_SX_EEENS5_IJS1I_SW_SX_NSS_IJLi5ELi6ELi7EEEENSS_IJLi8ELi9ELi10EEEEEEENSS_IJLi5ELi6ELi7ELi8ELi9ELi10EEEElEEEEES30_NS_31BlockToCTileMap_M00_N00_M01_N01ILi128ELi128ES1R_Lb0EEENS1_30ComputePtrOffsetOfStridedBatchILi1ELi1ELi1EvEELb1ELb1EEEvPKT0_S38_T1_PT2_T3_T4_T5_iT6_T7_T8_T9_T10_T11_,@function
_ZN2ck16tensor_operation6device12_GLOBAL__N_137kernel_grouped_conv_fwd_dl_multiple_dINS_32GridwiseGemmDlMultipleD_km_kn_mnILi256EaiNS_5TupleIJaEEEaNS0_12element_wise11PassThroughES8_NS7_7AddReluELNS_25InMemoryDataOperationEnumE0ENS_16TensorDescriptorINS5_IJNS_5EmbedINS5_IJiiiEEESD_Lb0EEENS_11PassThroughIiEENS_3PadIiiiLb0EEESG_SG_NSC_INS5_IJiiEEESJ_Lb0EEESG_NS_23Merge_v2_magic_divisionISJ_EESM_NS_8RightPadIiiLb0EEESO_NS_7UnMergeISJ_Lb0EEESG_EEENS5_IJNS_8SequenceIJLi0EEEENSS_IJLi1EEEENSS_IJLi2EEEENSS_IJLi3EEEENSS_IJLi4EEEENSS_IJLi5EEEENSS_IJLi6EEEENSS_IJLi7ELi9EEEENSS_IJLi8ELi10EEEENSS_IJLi11EEEENSS_IJLi12EEEENSS_IJLi14EEEENSS_IJLi13EEEEEEENS5_IJNSS_IJLi1ELi2ELi3EEEESX_SY_SZ_NSS_IJLi7EEEENSS_IJLi8ELi9EEEENSS_IJLi10EEEES12_S13_S15_S14_NSS_IJLi15ELi16EEEENSS_IJLi17EEEEEEENSS_IJLi15ELi17ELi16EEEElEENSB_INS5_IJSQ_SO_SO_SQ_SG_EEENS5_IJST_SU_SV_SX_SW_EEENS5_IJNSS_IJLi1ELi2EEEESW_SX_NSS_IJLi5ELi6EEEES18_EEENSS_IJLi5ELi7ELi6EEEElEENSB_INS5_IJSK_SO_SO_EEENS5_IJST_SU_SV_EEENS5_IJS1I_SW_SX_EEENSS_IJLi3ELi4EEEElEELi128ELi128ELi16ELi4ELi4ELi4ELi1ENSS_IJLi8ELi2EEEES1S_NSS_IJLi8ELi1ELi1ELi4EEEENSS_IJLi2ELi1ELi128ELi1EEEENSS_IJLi1ELi2ELi0ELi3EEEES1V_NSS_IJLi4ELi1ELi1ELi4EEEES1V_NSS_IJLi1ELi1ELi1ELi4EEEES1T_S1U_S1V_S1V_S1W_S1V_S1X_NSS_IJLi0ELi1ELi2ELi3ELi4ELi5EEEELi5ELi4EEEaNS5_IJPKaEEEaS8_S8_S9_NSB_INS5_IJSE_SG_SI_SG_SG_SK_SG_SM_SM_SO_SO_SQ_SG_SG_NSP_INS5_IJiNS_17integral_constantIiLi128EEEEEELb0EEENSF_INS23_IiLi4EEEEEEEENS5_IJST_SU_SV_SW_SX_SY_SZ_S10_S11_S12_S13_S14_S15_NSS_IJLi15EEEES1C_NSS_IJLi16EEEEEEENS5_IJS17_SX_SY_SZ_S18_S19_S1A_S12_S13_S15_S14_S1B_S1C_NSS_IJLi18EEEENSS_IJLi19ELi20EEEENSS_IJLi21EEEEEEENSS_IJLi18ELi19ELi20ELi21EEEElEENSB_INS5_IJSQ_SO_SO_SQ_SG_SG_S26_S28_EEENS5_IJST_SU_SV_SX_SW_SY_S18_SZ_EEENS5_IJS1I_SW_SX_S1J_S18_NSS_IJLi8EEEENSS_IJLi9ELi10EEEES12_EEENSS_IJLi8ELi9ELi10ELi11EEEElEENS5_IJNSB_INS5_IJSK_SO_SO_NSP_INS5_IJiNS23_IiLi2EEENS23_IiLi64EEEEEELb0EEES2T_EEENS5_IJST_SU_SV_SW_SX_EEENS5_IJS1I_SW_SX_NSS_IJLi5ELi6ELi7EEEENSS_IJLi8ELi9ELi10EEEEEEENSS_IJLi5ELi6ELi7ELi8ELi9ELi10EEEElEEEEES30_NS_31BlockToCTileMap_M00_N00_M01_N01ILi128ELi128ES1R_Lb0EEENS1_30ComputePtrOffsetOfStridedBatchILi1ELi1ELi1EvEELb1ELb1EEEvPKT0_S38_T1_PT2_T3_T4_T5_iT6_T7_T8_T9_T10_T11_: ; @_ZN2ck16tensor_operation6device12_GLOBAL__N_137kernel_grouped_conv_fwd_dl_multiple_dINS_32GridwiseGemmDlMultipleD_km_kn_mnILi256EaiNS_5TupleIJaEEEaNS0_12element_wise11PassThroughES8_NS7_7AddReluELNS_25InMemoryDataOperationEnumE0ENS_16TensorDescriptorINS5_IJNS_5EmbedINS5_IJiiiEEESD_Lb0EEENS_11PassThroughIiEENS_3PadIiiiLb0EEESG_SG_NSC_INS5_IJiiEEESJ_Lb0EEESG_NS_23Merge_v2_magic_divisionISJ_EESM_NS_8RightPadIiiLb0EEESO_NS_7UnMergeISJ_Lb0EEESG_EEENS5_IJNS_8SequenceIJLi0EEEENSS_IJLi1EEEENSS_IJLi2EEEENSS_IJLi3EEEENSS_IJLi4EEEENSS_IJLi5EEEENSS_IJLi6EEEENSS_IJLi7ELi9EEEENSS_IJLi8ELi10EEEENSS_IJLi11EEEENSS_IJLi12EEEENSS_IJLi14EEEENSS_IJLi13EEEEEEENS5_IJNSS_IJLi1ELi2ELi3EEEESX_SY_SZ_NSS_IJLi7EEEENSS_IJLi8ELi9EEEENSS_IJLi10EEEES12_S13_S15_S14_NSS_IJLi15ELi16EEEENSS_IJLi17EEEEEEENSS_IJLi15ELi17ELi16EEEElEENSB_INS5_IJSQ_SO_SO_SQ_SG_EEENS5_IJST_SU_SV_SX_SW_EEENS5_IJNSS_IJLi1ELi2EEEESW_SX_NSS_IJLi5ELi6EEEES18_EEENSS_IJLi5ELi7ELi6EEEElEENSB_INS5_IJSK_SO_SO_EEENS5_IJST_SU_SV_EEENS5_IJS1I_SW_SX_EEENSS_IJLi3ELi4EEEElEELi128ELi128ELi16ELi4ELi4ELi4ELi1ENSS_IJLi8ELi2EEEES1S_NSS_IJLi8ELi1ELi1ELi4EEEENSS_IJLi2ELi1ELi128ELi1EEEENSS_IJLi1ELi2ELi0ELi3EEEES1V_NSS_IJLi4ELi1ELi1ELi4EEEES1V_NSS_IJLi1ELi1ELi1ELi4EEEES1T_S1U_S1V_S1V_S1W_S1V_S1X_NSS_IJLi0ELi1ELi2ELi3ELi4ELi5EEEELi5ELi4EEEaNS5_IJPKaEEEaS8_S8_S9_NSB_INS5_IJSE_SG_SI_SG_SG_SK_SG_SM_SM_SO_SO_SQ_SG_SG_NSP_INS5_IJiNS_17integral_constantIiLi128EEEEEELb0EEENSF_INS23_IiLi4EEEEEEEENS5_IJST_SU_SV_SW_SX_SY_SZ_S10_S11_S12_S13_S14_S15_NSS_IJLi15EEEES1C_NSS_IJLi16EEEEEEENS5_IJS17_SX_SY_SZ_S18_S19_S1A_S12_S13_S15_S14_S1B_S1C_NSS_IJLi18EEEENSS_IJLi19ELi20EEEENSS_IJLi21EEEEEEENSS_IJLi18ELi19ELi20ELi21EEEElEENSB_INS5_IJSQ_SO_SO_SQ_SG_SG_S26_S28_EEENS5_IJST_SU_SV_SX_SW_SY_S18_SZ_EEENS5_IJS1I_SW_SX_S1J_S18_NSS_IJLi8EEEENSS_IJLi9ELi10EEEES12_EEENSS_IJLi8ELi9ELi10ELi11EEEElEENS5_IJNSB_INS5_IJSK_SO_SO_NSP_INS5_IJiNS23_IiLi2EEENS23_IiLi64EEEEEELb0EEES2T_EEENS5_IJST_SU_SV_SW_SX_EEENS5_IJS1I_SW_SX_NSS_IJLi5ELi6ELi7EEEENSS_IJLi8ELi9ELi10EEEEEEENSS_IJLi5ELi6ELi7ELi8ELi9ELi10EEEElEEEEES30_NS_31BlockToCTileMap_M00_N00_M01_N01ILi128ELi128ES1R_Lb0EEENS1_30ComputePtrOffsetOfStridedBatchILi1ELi1ELi1EvEELb1ELb1EEEvPKT0_S38_T1_PT2_T3_T4_T5_iT6_T7_T8_T9_T10_T11_
; %bb.0:
	s_clause 0x1
	s_load_b32 s2, s[0:1], 0x24
	s_load_b32 s4, s[0:1], 0x288
	s_mov_b32 s36, 0
	s_mov_b64 s[34:35], src_shared_base
	s_mov_b32 s37, s36
	s_mov_b32 s38, s36
	;; [unrolled: 1-line block ×3, first 2 shown]
	v_mov_b32_e32 v17, s35
	v_dual_mov_b32 v41, s39 :: v_dual_mov_b32 v38, s36
	v_dual_mov_b32 v40, s38 :: v_dual_mov_b32 v39, s37
	v_lshlrev_b32_e32 v2, 3, v0
	s_clause 0x2
	s_load_b256 s[16:23], s[0:1], 0x34
	s_load_b128 s[8:11], s[0:1], 0x0
	s_load_b64 s[12:13], s[0:1], 0x18
	v_lshrrev_b32_e32 v21, 1, v0
	v_lshrrev_b32_e32 v6, 5, v0
	s_mov_b32 s72, 0
	s_mov_b32 s73, 32
	;; [unrolled: 1-line block ×3, first 2 shown]
	s_waitcnt lgkmcnt(0)
	s_abs_i32 s3, s2
	s_abs_i32 s7, s4
	v_cvt_f32_u32_e32 v1, s3
	s_sub_i32 s6, 0, s3
	s_xor_b32 s2, s4, s2
	s_mov_b32 s76, s36
	s_movk_i32 s32, 0x1e0
	v_rcp_iflag_f32_e32 v1, v1
	v_mov_b32_e32 v34, 0
	v_and_b32_e32 v22, 8, v2
	s_delay_alu instid0(VALU_DEP_2) | instskip(SKIP_3) | instid1(TRANS32_DEP_1)
	v_dual_mov_b32 v3, v34 :: v_dual_lshlrev_b32 v2, 6, v6
	v_mov_b32_e32 v16, v34
	v_mov_b32_e32 v11, v34
	;; [unrolled: 1-line block ×3, first 2 shown]
	v_dual_mul_f32 v1, 0x4f7ffffe, v1 :: v_dual_mov_b32 v4, v34
	v_mov_b32_e32 v15, v34
	s_delay_alu instid0(VALU_DEP_2) | instskip(NEXT) | instid1(VALU_DEP_1)
	v_cvt_u32_f32_e32 v1, v1
	v_readfirstlane_b32 s5, v1
	s_delay_alu instid0(VALU_DEP_1) | instskip(NEXT) | instid1(SALU_CYCLE_1)
	s_mul_i32 s6, s6, s5
	s_mul_hi_u32 s6, s5, s6
	s_delay_alu instid0(SALU_CYCLE_1) | instskip(SKIP_2) | instid1(SALU_CYCLE_1)
	s_add_i32 s5, s5, s6
	s_ashr_i32 s6, s2, 31
	s_mul_hi_u32 s5, s7, s5
	s_mul_i32 s4, s5, s3
	s_delay_alu instid0(SALU_CYCLE_1)
	s_sub_i32 s2, s7, s4
	s_add_i32 s4, s5, 1
	s_sub_i32 s7, s2, s3
	s_cmp_ge_u32 s2, s3
	s_cselect_b32 s4, s4, s5
	s_cselect_b32 s2, s7, s2
	s_add_i32 s5, s4, 1
	s_cmp_ge_u32 s2, s3
	s_clause 0x7
	s_load_b64 s[58:59], s[0:1], 0x60
	s_load_b32 s14, s[0:1], 0x70
	s_load_b32 s19, s[0:1], 0x78
	;; [unrolled: 1-line block ×7, first 2 shown]
	s_cselect_b32 s3, s5, s4
	s_abs_i32 s38, s15
	s_xor_b32 s4, s3, s6
	s_clause 0x6
	s_load_b32 s23, s[0:1], 0xc4
	s_load_b32 s77, s[0:1], 0xd0
	;; [unrolled: 1-line block ×7, first 2 shown]
	s_sub_i32 s40, s4, s6
	s_clause 0x3
	s_load_b32 s46, s[0:1], 0x148
	s_load_b64 s[56:57], s[0:1], 0x158
	s_load_b32 s33, s[0:1], 0x164
	s_load_b32 s60, s[0:1], 0x170
	s_abs_i32 s41, s40
	s_clause 0x2
	s_load_b32 s47, s[0:1], 0x204
	s_load_b32 s67, s[0:1], 0x214
	s_load_b128 s[4:7], s[0:1], 0x220
	v_cvt_f32_u32_e32 v1, s41
	s_sub_i32 s37, 0, s41
	s_clause 0x2
	s_load_b128 s[52:55], s[0:1], 0x234
	s_load_b128 s[48:51], s[0:1], 0x248
	s_load_b256 s[24:31], s[0:1], 0x260
	s_clause 0x3
	scratch_store_b128 off, v[38:41], off offset:144
	scratch_store_b128 off, v[38:41], off offset:160
	;; [unrolled: 1-line block ×4, first 2 shown]
	v_rcp_iflag_f32_e32 v1, v1
	v_lshlrev_b32_e32 v8, 1, v0
	v_lshlrev_b32_e32 v0, 2, v0
	s_clause 0x1
	scratch_store_b128 off, v[38:41], off offset:208
	scratch_store_b128 off, v[38:41], off offset:224
	s_waitcnt lgkmcnt(0)
	v_mul_lo_u32 v23, s23, v22
	s_clause 0x9
	scratch_store_b128 off, v[38:41], off offset:240
	scratch_store_b128 off, v[38:41], off offset:256
	;; [unrolled: 1-line block ×10, first 2 shown]
	v_mul_f32_e32 v5, 0x4f7ffffe, v1
	v_mov_b32_e32 v1, v34
	v_mov_b32_e32 v7, v34
	;; [unrolled: 1-line block ×3, first 2 shown]
	s_clause 0x1
	scratch_store_b64 off, v[16:17], off offset:400
	scratch_store_b8 off, v34, off offset:409
	v_cvt_u32_f32_e32 v10, v5
	v_dual_mov_b32 v5, v34 :: v_dual_mov_b32 v16, 0x4000
	v_mul_lo_u32 v25, s65, v22
	s_clause 0x1
	scratch_store_b64 off, v[16:17], off offset:416
	scratch_store_b8 off, v34, off offset:425
	v_readfirstlane_b32 s35, v10
	v_and_b32_e32 v10, 0x1f8, v8
	v_and_b32_e32 v8, 0x1fc, v8
	v_mov_b32_e32 v16, 0x2000
	s_clause 0x1
	scratch_store_b64 off, v[16:17], off offset:432
	scratch_store_b8 off, v34, off offset:441
	s_mul_i32 s37, s37, s35
	v_sub_nc_u32_e32 v8, v8, v10
	s_mul_hi_u32 s37, s35, s37
	v_sub_nc_u32_e32 v2, v10, v2
	s_add_i32 s35, s35, s37
	s_xor_b32 s37, s15, s40
	s_mul_hi_u32 s35, s38, s35
	s_ashr_i32 s37, s37, 31
	s_mul_i32 s39, s35, s41
	v_lshl_add_u32 v35, v6, 3, v8
	s_sub_i32 s38, s38, s39
	s_add_i32 s39, s35, 1
	s_sub_i32 s40, s38, s41
	s_cmp_ge_u32 s38, s41
	v_and_or_b32 v37, v0, 4, v2
	s_cselect_b32 s35, s39, s35
	s_cselect_b32 s38, s40, s38
	s_add_i32 s39, s35, 1
	s_cmp_ge_u32 s38, s41
	v_mul_hi_u32 v2, v23, s66
	s_cselect_b32 s35, s39, s35
	v_lshlrev_b32_e32 v0, 2, v35
	s_xor_b32 s35, s35, s37
	v_lshlrev_b32_e32 v8, 2, v37
	s_sub_i32 s62, s35, s37
	s_mul_hi_u32 s35, s55, s15
	s_ashr_i32 s55, s62, 31
	s_mul_hi_u32 s37, s24, s62
	s_mul_i32 s38, s24, s62
	s_mul_hi_u32 s39, s26, s62
	s_mul_i32 s44, s26, s62
	;; [unrolled: 2-line block ×3, first 2 shown]
	s_mul_i32 s26, s26, s55
	s_mul_i32 s41, s30, s55
	;; [unrolled: 1-line block ×5, first 2 shown]
	s_add_i32 s24, s37, s24
	s_add_i32 s26, s39, s26
	;; [unrolled: 1-line block ×6, first 2 shown]
	s_add_u32 s40, s8, s38
	s_addc_u32 s41, s9, s25
	s_add_u32 s44, s10, s44
	s_addc_u32 s45, s11, s26
	s_add_i32 s8, s15, s35
	v_add_nc_u32_e32 v10, v23, v2
	s_lshr_b32 s8, s8, s51
	s_lshl_b32 s68, s23, 2
	s_mul_hi_u32 s9, s8, s54
	v_add_nc_u32_e32 v42, s68, v23
	s_add_i32 s9, s8, s9
	v_lshrrev_b32_e32 v26, s64, v10
	s_lshr_b32 s9, s9, s50
	s_lshl_b32 s25, s65, 2
	s_mul_hi_u32 s10, s9, s53
	v_mul_hi_u32 v20, v42, s66
	s_add_i32 s10, s9, s10
	v_mul_lo_u32 v18, v26, s58
	s_lshr_b32 s10, s10, s49
	v_mov_b32_e32 v36, v34
	s_mul_hi_u32 s11, s10, s52
	v_dual_mov_b32 v2, v35 :: v_dual_add_nc_u32 v43, s25, v25
	s_add_i32 s11, s10, s11
	v_add_nc_u32_e32 v30, v42, v20
	s_lshr_b32 s11, s11, s48
	v_mul_lo_u32 v28, v26, s63
	s_mul_i32 s11, s11, s4
	s_mul_i32 s4, s9, s6
	s_sub_i32 s6, s10, s11
	s_sub_i32 s37, s8, s4
	s_mul_i32 s6, s6, s47
	s_mul_i32 s10, s10, s5
	s_add_i32 s37, s37, s6
	s_mul_i32 s8, s8, s7
	v_lshl_or_b32 v24, s37, 7, v21
	s_sub_i32 s4, s9, s10
	v_lshrrev_b32_e32 v57, s64, v30
	s_sub_i32 s38, s15, s8
	s_mul_i32 s4, s4, s67
	v_mul_hi_u32 v6, v24, s19
	s_add_i32 s38, s38, s4
	s_clause 0x1
	scratch_store_b128 off, v[34:37], off offset:64
	scratch_store_b128 off, v[0:3], off offset:80
	v_mul_lo_u32 v1, v57, s63
	v_lshl_or_b32 v31, s38, 7, v21
	v_mov_b32_e32 v16, 0x6000
	s_sub_i32 s20, s20, s22
	v_cmp_gt_i32_e64 s4, s61, v25
	v_add_nc_u32_e32 v14, v24, v6
	v_mov_b32_e32 v6, v35
	v_mul_lo_u32 v36, v31, s43
	v_sub_nc_u32_e32 v61, v42, v1
	s_mov_b32 s43, 0x31004000
	v_lshrrev_b32_e32 v27, s34, v14
	v_mov_b32_e32 v14, v37
	s_mov_b32 s47, s43
	v_cmp_gt_i32_e64 s3, s3, v31
	v_cmp_gt_i32_e64 s6, s61, v43
	v_mul_lo_u32 v19, v27, s14
	v_add_nc_u32_e32 v2, v36, v25
	s_mov_b64 s[10:11], src_private_base
	v_cmp_gt_i32_e64 s2, s2, v24
	s_mov_b32 s48, 64
	s_movk_i32 s53, 0x190
	s_movk_i32 s52, 0x1a0
	;; [unrolled: 1-line block ×3, first 2 shown]
	v_sub_nc_u32_e32 v29, v24, v19
	s_movk_i32 s39, 0x1c0
	s_mov_b32 s54, s11
	s_mov_b32 s51, s11
	;; [unrolled: 1-line block ×3, first 2 shown]
	v_mad_u64_u32 v[19:20], null, v29, s59, v[18:19]
	v_or_b32_e32 v18, 32, v22
	v_mov_b32_e32 v10, v37
	v_or_b32_e32 v20, 20, v22
	s_mov_b32 s59, s11
	s_mov_b32 s74, s11
	v_mul_lo_u32 v47, s23, v18
	v_subrev_nc_u32_e32 v0, s21, v19
	v_mov_b32_e32 v12, v34
	v_cmp_le_i32_e64 s7, s21, v19
	v_cmp_gt_i32_e64 s8, s20, v19
	v_mul_lo_u32 v48, s23, v20
	v_mul_lo_u32 v45, s65, v18
	;; [unrolled: 1-line block ×3, first 2 shown]
	v_mov_b32_e32 v53, v47
	s_clause 0x2
	scratch_store_b128 off, v[4:7], off offset:96
	scratch_store_b128 off, v[8:11], off offset:112
	;; [unrolled: 1-line block ×3, first 2 shown]
	v_mul_lo_u32 v9, v0, s17
	v_sub_nc_u32_e32 v0, v57, v26
	v_sub_nc_u32_e32 v4, v23, v28
	s_clause 0x1
	scratch_store_b64 off, v[16:17], off offset:448
	scratch_store_b8 off, v34, off offset:457
	v_mul_lo_u32 v8, v27, s16
	v_add_nc_u32_e32 v5, s25, v2
	v_mul_lo_u32 v16, v0, s58
	v_mul_lo_u32 v10, v4, s18
	v_sub_nc_u32_e32 v11, v61, v4
	s_clause 0x1
	buffer_load_b128 v[0:3], v2, s[44:47], 0 offen
	buffer_load_b128 v[4:7], v5, s[44:47], 0 offen
	v_lshlrev_b32_e32 v17, 2, v21
	s_and_b32 s7, s7, s8
	v_mul_lo_u32 v11, v11, s18
	v_mul_lo_u32 v12, v16, s17
	v_add3_u32 v8, v8, v10, v9
	v_add_nc_u32_e32 v59, v19, v16
	v_lshl_or_b32 v34, v22, 9, v17
	v_or_b32_e32 v17, 36, v22
	v_or_b32_e32 v21, 16, v22
	v_mov_b32_e32 v54, v48
	v_cmp_le_i32_e64 s9, s21, v59
	v_add3_u32 v58, v11, v12, v8
	s_clause 0x1
	buffer_load_b128 v[8:11], v8, s[40:43], 0 offen
	buffer_load_b128 v[12:15], v58, s[40:43], 0 offen
	s_clause 0x5
	s_load_b64 s[14:15], s[0:1], 0x1e8
	s_load_b32 s67, s[0:1], 0xb4
	s_load_b64 s[26:27], s[0:1], 0x198
	s_load_b64 s[34:35], s[0:1], 0x1a8
	s_load_b32 s16, s[0:1], 0x1b4
	s_load_b32 s19, s[0:1], 0x1c0
	v_cmp_gt_i32_e64 s10, s20, v59
	v_mul_lo_u32 v46, s23, v17
	v_mul_lo_u32 v49, s23, v21
	;; [unrolled: 1-line block ×4, first 2 shown]
	s_and_b32 s8, s9, s10
	s_waitcnt lgkmcnt(0)
	s_movk_i32 s15, 0x90
	s_mov_b32 s27, s11
	s_mov_b32 s75, s11
	v_dual_mov_b32 v52, v46 :: v_dual_mov_b32 v55, v49
	s_mul_i32 s71, s23, 12
	s_mul_i32 s70, s30, s62
	s_sub_i32 s77, s77, 32
	s_lshl_b32 s78, s65, 5
	s_lshl_b32 s79, s23, 5
	s_sub_i32 s80, 0, s63
	v_cmp_gt_i32_e32 vcc_lo, s67, v23
	v_cmp_gt_i32_e64 s5, s67, v42
	s_and_b32 s7, vcc_lo, s7
	s_and_b32 vcc_lo, s4, s3
	s_delay_alu instid0(VALU_DEP_1)
	s_and_b32 s5, s5, s8
	s_waitcnt vmcnt(3)
	v_cndmask_b32_e32 v0, 0, v0, vcc_lo
	v_dual_cndmask_b32 v2, 0, v2 :: v_dual_cndmask_b32 v3, 0, v3
	v_cndmask_b32_e32 v1, 0, v1, vcc_lo
	s_and_b32 vcc_lo, s6, s3
	s_delay_alu instid0(VALU_DEP_3)
	v_perm_b32 v0, v0, v0, 0x3020104
	s_waitcnt vmcnt(2)
	v_cndmask_b32_e32 v4, 0, v4, vcc_lo
	v_cndmask_b32_e32 v6, 0, v6, vcc_lo
	v_perm_b32 v2, v2, v2, 0x3020104
	v_cndmask_b32_e32 v7, 0, v7, vcc_lo
	v_cndmask_b32_e32 v5, 0, v5, vcc_lo
	s_and_b32 vcc_lo, s2, s7
	ds_store_2addr_stride64_b32 v34, v0, v1 offset0:64 offset1:66
	ds_store_2addr_stride64_b32 v34, v2, v3 offset0:68 offset1:70
	v_perm_b32 v0, v4, v4, 0x3020104
	v_perm_b32 v1, v6, v6, 0x3020104
	s_waitcnt vmcnt(1)
	v_dual_cndmask_b32 v2, 0, v11 :: v_dual_cndmask_b32 v3, 0, v10
	v_cndmask_b32_e32 v4, 0, v9, vcc_lo
	v_cndmask_b32_e32 v6, 0, v8, vcc_lo
	s_and_b32 vcc_lo, s2, s5
	s_waitcnt vmcnt(0)
	v_dual_cndmask_b32 v9, 0, v12 :: v_dual_cndmask_b32 v10, 0, v14
	v_mov_b32_e32 v56, v42
	v_perm_b32 v6, v6, v6, 0x3020104
	v_perm_b32 v3, v3, v3, 0x3020104
	v_cndmask_b32_e32 v11, 0, v13, vcc_lo
	v_perm_b32 v9, v9, v9, 0x3020104
	v_cndmask_b32_e32 v8, 0, v15, vcc_lo
	v_perm_b32 v10, v10, v10, 0x3020104
	ds_store_2addr_stride64_b32 v34, v0, v5 offset0:72 offset1:74
	ds_store_2addr_stride64_b32 v34, v6, v4 offset1:2
	ds_store_2addr_stride64_b32 v34, v3, v2 offset0:4 offset1:6
	ds_store_2addr_stride64_b32 v34, v9, v11 offset0:8 offset1:10
	;; [unrolled: 1-line block ×4, first 2 shown]
.LBB2_1:                                ; =>This Inner Loop Header: Depth=1
	v_mul_hi_u32 v0, s66, v55
	v_add_nc_u32_e32 v33, s36, v49
	v_mul_hi_u32 v1, s66, v54
	v_add_nc_u32_e32 v32, s36, v48
	v_add_nc_u32_e32 v4, v50, v36
	s_getpc_b64 s[22:23]
	s_add_u32 s22, s22, _ZNK2ck6detail15static_for_implINS_8SequenceIJLi1ELi2ELi3ELi4ELi5ELi6ELi7ELi8ELi9ELi10ELi11ELi12ELi13ELi14ELi15EEEEEclIZNKS_80BlockwiseGemmDl_A_BK0_BM_BK1_B_BK0_BN_BK1_C_BM0_BM1_BN0_BN1_pipeline_BM0_2_BN0_2ILi256EaaiKNS_16TensorDescriptorINS_5TupleIJNS_5EmbedINS8_IJNS_17integral_constantIiLi16EEENSA_IiLi128EEENSA_IiLi4EEEEEENS8_IJNSA_IiLi512EEESD_NSA_IiLi1EEEEEELb0EEEEEENS8_IJNS2_IJLi0EEEEEEENS8_IJNS2_IJLi1ELi2ELi3EEEEEEESM_NSA_IlLl8192EEEEESQ_Li4ELi4ELi1ENS2_IJLi8ELi2EEEESR_Li4ELi4ELb0EE3RunINS7_INS8_IJNS_7UnMergeINS8_IJNSA_IiLi2EEESD_SV_SD_EEELb0EEEEEESL_NS8_IJNS2_IJLi1ELi2ELi3ELi4EEEEEEESZ_NSA_IlLl64EEEEENS_13DynamicBufferILNS_16AddressSpaceEnumE2EaSO_Lb1ELNS_22AmdBufferCoherenceEnumE0EiEES16_NS_12StaticBufferILS14_4EiLi64ELb1EEEEEvRKT_RKT0_RKT1_RT2_EUlS19_E_EEvS19_@rel32@lo+4
	s_addc_u32 s23, s23, _ZNK2ck6detail15static_for_implINS_8SequenceIJLi1ELi2ELi3ELi4ELi5ELi6ELi7ELi8ELi9ELi10ELi11ELi12ELi13ELi14ELi15EEEEEclIZNKS_80BlockwiseGemmDl_A_BK0_BM_BK1_B_BK0_BN_BK1_C_BM0_BM1_BN0_BN1_pipeline_BM0_2_BN0_2ILi256EaaiKNS_16TensorDescriptorINS_5TupleIJNS_5EmbedINS8_IJNS_17integral_constantIiLi16EEENSA_IiLi128EEENSA_IiLi4EEEEEENS8_IJNSA_IiLi512EEESD_NSA_IiLi1EEEEEELb0EEEEEENS8_IJNS2_IJLi0EEEEEEENS8_IJNS2_IJLi1ELi2ELi3EEEEEEESM_NSA_IlLl8192EEEEESQ_Li4ELi4ELi1ENS2_IJLi8ELi2EEEESR_Li4ELi4ELb0EE3RunINS7_INS8_IJNS_7UnMergeINS8_IJNSA_IiLi2EEESD_SV_SD_EEELb0EEEEEESL_NS8_IJNS2_IJLi1ELi2ELi3ELi4EEEEEEESZ_NSA_IlLl64EEEEENS_13DynamicBufferILNS_16AddressSpaceEnumE2EaSO_Lb1ELNS_22AmdBufferCoherenceEnumE0EiEES16_NS_12StaticBufferILS14_4EiLi64ELb1EEEEEvRKT_RKT0_RKT1_RT2_EUlS19_E_EEvS19_@rel32@hi+12
	v_mul_hi_u32 v97, s66, v52
	v_add_nc_u32_e32 v0, v33, v0
	v_add_nc_u32_e32 v1, v32, v1
	s_delay_alu instid0(VALU_DEP_2) | instskip(NEXT) | instid1(VALU_DEP_2)
	v_lshrrev_b32_e32 v0, s64, v0
	v_lshrrev_b32_e32 v94, s64, v1
	s_delay_alu instid0(VALU_DEP_2) | instskip(SKIP_1) | instid1(VALU_DEP_3)
	v_mul_lo_u32 v2, s80, v0
	v_sub_nc_u32_e32 v1, v0, v57
	v_mad_u64_u32 v[92:93], null, s80, v94, v[32:33]
	v_sub_nc_u32_e32 v0, v94, v0
	s_delay_alu instid0(VALU_DEP_3) | instskip(SKIP_2) | instid1(VALU_DEP_4)
	v_mul_lo_u32 v93, v1, s58
	v_sub_nc_u32_e32 v1, v2, v61
	v_add_nc_u32_e32 v2, v33, v2
	v_mul_lo_u32 v95, v0, s58
	s_delay_alu instid0(VALU_DEP_3) | instskip(SKIP_1) | instid1(VALU_DEP_4)
	v_add_nc_u32_e32 v1, v33, v1
	v_mul_lo_u32 v0, v93, s17
	v_sub_nc_u32_e32 v2, v92, v2
	s_delay_alu instid0(VALU_DEP_4) | instskip(NEXT) | instid1(VALU_DEP_4)
	v_mul_lo_u32 v3, v95, s17
	v_mul_lo_u32 v1, v1, s18
	s_delay_alu instid0(VALU_DEP_3) | instskip(NEXT) | instid1(VALU_DEP_2)
	v_mul_lo_u32 v2, v2, s18
	v_add3_u32 v8, v0, v58, v1
	v_add_nc_u32_e32 v0, v51, v36
	s_delay_alu instid0(VALU_DEP_2)
	v_add3_u32 v96, v8, v3, v2
	s_clause 0x1
	buffer_load_b128 v[0:3], v0, s[44:47], 0 offen
	buffer_load_b128 v[4:7], v4, s[44:47], 0 offen
	s_clause 0x1
	buffer_load_b128 v[8:11], v8, s[40:43], 0 offen
	buffer_load_b128 v[12:15], v96, s[40:43], 0 offen
	s_waitcnt vmcnt(0) lgkmcnt(0)
	s_waitcnt_vscnt null, 0x0
	s_barrier
	s_clause 0x3
	scratch_load_b32 v18, off, off offset:80
	scratch_load_b64 v[16:17], off, off offset:400
	scratch_load_b32 v22, off, off offset:112
	scratch_load_b64 v[20:21], off, off offset:416
	s_clause 0x3
	scratch_store_b128 off, v[38:41], off
	scratch_store_b128 off, v[38:41], off offset:16
	scratch_store_b128 off, v[38:41], off offset:32
	;; [unrolled: 1-line block ×3, first 2 shown]
	s_waitcnt vmcnt(3)
	v_ashrrev_i32_e32 v19, 31, v18
	s_waitcnt vmcnt(2)
	v_add_co_u32 v57, vcc_lo, v16, v18
	s_waitcnt vmcnt(1)
	v_ashrrev_i32_e32 v23, 31, v22
	v_add_co_ci_u32_e32 v58, vcc_lo, v17, v19, vcc_lo
	s_waitcnt vmcnt(0)
	v_add_co_u32 v24, vcc_lo, v20, v22
	s_delay_alu instid0(VALU_DEP_3)
	v_add_co_ci_u32_e32 v25, vcc_lo, v21, v23, vcc_lo
	flat_load_b128 v[16:19], v[57:58]
	v_cmp_gt_i32_e32 vcc_lo, s67, v33
	s_waitcnt vmcnt(0) lgkmcnt(0)
	scratch_store_b128 off, v[16:19], off
	flat_load_b128 v[20:23], v[24:25]
	s_waitcnt vmcnt(0) lgkmcnt(0)
	scratch_store_b128 off, v[20:23], off offset:32
	flat_load_b128 v[24:27], v[24:25] offset:256
	s_clause 0x7
	scratch_load_b128 v[28:31], off, off offset:144
	scratch_load_b128 v[60:63], off, off offset:176
	;; [unrolled: 1-line block ×8, first 2 shown]
	s_waitcnt vmcnt(8) lgkmcnt(0)
	scratch_store_b128 off, v[24:27], off offset:48
	flat_load_b128 v[88:91], v[57:58] offset:256
	v_add_nc_u32_e32 v57, v93, v59
	v_add_nc_u32_e32 v58, s69, v51
	;; [unrolled: 1-line block ×3, first 2 shown]
	v_mul_hi_u32 v93, s66, v53
	s_delay_alu instid0(VALU_DEP_4)
	v_cmp_le_i32_e64 s4, s21, v57
	v_cmp_gt_i32_e64 s5, s20, v57
	v_cmp_gt_i32_e64 s9, s61, v58
	;; [unrolled: 1-line block ×3, first 2 shown]
	s_waitcnt vmcnt(2)
	v_dot4_i32_iu8 v58, v18, v25, v81 neg_lo:[1,1,0]
	v_dot4_i32_iu8 v59, v18, v26, v82 neg_lo:[1,1,0]
	s_and_b32 s4, s4, s5
	s_delay_alu instid0(SALU_CYCLE_1)
	s_and_b32 s4, vcc_lo, s4
	s_and_b32 vcc_lo, s3, s9
	v_cndmask_b32_e32 v100, 0, v1, vcc_lo
	v_dual_cndmask_b32 v98, 0, v3 :: v_dual_add_nc_u32 v95, v95, v57
	v_cndmask_b32_e32 v99, 0, v2, vcc_lo
	v_cndmask_b32_e32 v101, 0, v0, vcc_lo
	s_and_b32 vcc_lo, s3, s10
	s_delay_alu instid0(VALU_DEP_3)
	v_cmp_le_i32_e64 s6, s21, v95
	v_cmp_gt_i32_e64 s7, s20, v95
	v_cndmask_b32_e32 v103, 0, v6, vcc_lo
	v_cmp_gt_i32_e64 s8, s67, v32
	v_cndmask_b32_e32 v102, 0, v7, vcc_lo
	v_cndmask_b32_e32 v104, 0, v5, vcc_lo
	s_and_b32 s5, s6, s7
	v_cndmask_b32_e32 v105, 0, v4, vcc_lo
	s_and_b32 s5, s8, s5
	s_and_b32 vcc_lo, s2, s4
	v_dot4_i32_iu8 v0, v16, v20, v28 neg_lo:[1,1,0]
	v_dual_cndmask_b32 v106, 0, v11 :: v_dual_cndmask_b32 v107, 0, v10
	v_dual_cndmask_b32 v108, 0, v9 :: v_dual_cndmask_b32 v109, 0, v8
	s_and_b32 vcc_lo, s2, s5
	v_dot4_i32_iu8 v1, v16, v21, v29 neg_lo:[1,1,0]
	v_dot4_i32_iu8 v2, v16, v22, v30 neg_lo:[1,1,0]
	;; [unrolled: 1-line block ×3, first 2 shown]
	v_dual_cndmask_b32 v110, 0, v15 :: v_dual_cndmask_b32 v111, 0, v14
	v_dual_cndmask_b32 v112, 0, v13 :: v_dual_cndmask_b32 v113, 0, v12
	v_dot4_i32_iu8 v4, v17, v20, v60 neg_lo:[1,1,0]
	v_dot4_i32_iu8 v5, v17, v21, v61 neg_lo:[1,1,0]
	v_dot4_i32_iu8 v6, v17, v22, v62 neg_lo:[1,1,0]
	v_dot4_i32_iu8 v7, v17, v23, v63 neg_lo:[1,1,0]
	v_dot4_i32_iu8 v8, v18, v20, v64 neg_lo:[1,1,0]
	v_dot4_i32_iu8 v9, v18, v21, v65 neg_lo:[1,1,0]
	v_dot4_i32_iu8 v10, v18, v22, v66 neg_lo:[1,1,0]
	v_dot4_i32_iu8 v11, v18, v23, v67 neg_lo:[1,1,0]
	v_dot4_i32_iu8 v12, v19, v20, v68 neg_lo:[1,1,0]
	v_dot4_i32_iu8 v13, v19, v21, v69 neg_lo:[1,1,0]
	v_dot4_i32_iu8 v14, v19, v22, v70 neg_lo:[1,1,0]
	v_dot4_i32_iu8 v15, v19, v23, v71 neg_lo:[1,1,0]
	v_dot4_i32_iu8 v20, v16, v24, v72 neg_lo:[1,1,0]
	v_dot4_i32_iu8 v21, v16, v25, v73 neg_lo:[1,1,0]
	v_dot4_i32_iu8 v22, v16, v26, v74 neg_lo:[1,1,0]
	v_dot4_i32_iu8 v23, v16, v27, v75 neg_lo:[1,1,0]
	v_dot4_i32_iu8 v28, v17, v24, v76 neg_lo:[1,1,0]
	v_dot4_i32_iu8 v29, v17, v25, v77 neg_lo:[1,1,0]
	v_dot4_i32_iu8 v30, v17, v26, v78 neg_lo:[1,1,0]
	v_dot4_i32_iu8 v31, v17, v27, v79 neg_lo:[1,1,0]
	v_dot4_i32_iu8 v57, v18, v24, v80 neg_lo:[1,1,0]
	v_dot4_i32_iu8 v60, v18, v27, v83 neg_lo:[1,1,0]
	s_waitcnt vmcnt(1)
	v_dot4_i32_iu8 v16, v19, v24, v84 neg_lo:[1,1,0]
	v_dot4_i32_iu8 v17, v19, v25, v85 neg_lo:[1,1,0]
	v_dot4_i32_iu8 v18, v19, v26, v86 neg_lo:[1,1,0]
	v_dot4_i32_iu8 v19, v19, v27, v87 neg_lo:[1,1,0]
	s_clause 0x7
	scratch_store_b128 off, v[0:3], off offset:144
	scratch_store_b128 off, v[20:23], off offset:160
	;; [unrolled: 1-line block ×8, first 2 shown]
	s_waitcnt vmcnt(0) lgkmcnt(0)
	scratch_store_b128 off, v[88:91], off offset:16
	v_dual_mov_b32 v0, s48 :: v_dual_mov_b32 v1, s11
	v_dual_mov_b32 v2, s53 :: v_dual_mov_b32 v3, s59
	;; [unrolled: 1-line block ×6, first 2 shown]
	s_swappc_b64 s[30:31], s[22:23]
	s_clause 0xe
	scratch_load_b32 v69, off, off offset:16
	scratch_load_b32 v70, off, off offset:32
	scratch_load_b128 v[0:3], off, off offset:272
	scratch_load_b128 v[4:7], off, off offset:32
	;; [unrolled: 1-line block ×6, first 2 shown]
	scratch_load_b32 v8, off, off offset:48
	scratch_load_b128 v[24:27], off, off offset:288
	scratch_load_b128 v[28:31], off, off offset:48
	;; [unrolled: 1-line block ×5, first 2 shown]
	scratch_load_b64 v[32:33], off, off offset:432
	v_perm_b32 v71, v109, v109, 0x3020104
	v_perm_b32 v72, v107, v107, 0x3020104
	;; [unrolled: 1-line block ×4, first 2 shown]
	s_add_i32 s4, s68, s71
	s_delay_alu instid0(SALU_CYCLE_1)
	v_add3_u32 v56, s4, s4, v56
	s_waitcnt vmcnt(12)
	v_dot4_i32_iu8 v0, v69, v70, v0 neg_lo:[1,1,0]
	s_waitcnt vmcnt(11)
	v_dot4_i32_iu8 v1, v69, v5, v1 neg_lo:[1,1,0]
	v_dot4_i32_iu8 v2, v69, v6, v2 neg_lo:[1,1,0]
	v_dot4_i32_iu8 v3, v69, v7, v3 neg_lo:[1,1,0]
	s_waitcnt vmcnt(9)
	v_dot4_i32_iu8 v13, v9, v5, v13 neg_lo:[1,1,0]
	v_dot4_i32_iu8 v14, v9, v6, v14 neg_lo:[1,1,0]
	;; [unrolled: 4-line block ×4, first 2 shown]
	v_dot4_i32_iu8 v6, v11, v6, v22 neg_lo:[1,1,0]
	v_dot4_i32_iu8 v7, v11, v7, v23 neg_lo:[1,1,0]
	s_waitcnt vmcnt(5)
	v_dot4_i32_iu8 v20, v69, v8, v24 neg_lo:[1,1,0]
	s_waitcnt vmcnt(4)
	v_dot4_i32_iu8 v21, v69, v29, v25 neg_lo:[1,1,0]
	v_dot4_i32_iu8 v22, v69, v30, v26 neg_lo:[1,1,0]
	;; [unrolled: 1-line block ×4, first 2 shown]
	s_waitcnt vmcnt(3)
	v_dot4_i32_iu8 v24, v9, v8, v57 neg_lo:[1,1,0]
	v_dot4_i32_iu8 v25, v9, v29, v58 neg_lo:[1,1,0]
	;; [unrolled: 1-line block ×4, first 2 shown]
	s_waitcnt vmcnt(0)
	v_add_co_u32 v28, vcc_lo, v32, v34
	v_dot4_i32_iu8 v16, v10, v70, v16 neg_lo:[1,1,0]
	v_dot4_i32_iu8 v57, v10, v8, v61 neg_lo:[1,1,0]
	;; [unrolled: 1-line block ×9, first 2 shown]
	v_add_co_ci_u32_e32 v29, vcc_lo, 0, v33, vcc_lo
	s_clause 0x7
	scratch_store_b128 off, v[0:3], off offset:272
	scratch_store_b128 off, v[20:23], off offset:288
	;; [unrolled: 1-line block ×8, first 2 shown]
	s_clause 0x7
	flat_store_b32 v[28:29], v71
	flat_store_b32 v[28:29], v108 offset:512
	flat_store_b32 v[28:29], v72 offset:1024
	;; [unrolled: 1-line block ×7, first 2 shown]
	scratch_load_b64 v[20:21], off, off offset:448
	v_add_nc_u32_e32 v59, s36, v47
	v_add_nc_u32_e32 v61, s36, v46
	v_perm_b32 v4, v99, v99, 0x3020104
	v_add_nc_u32_e32 v9, v45, v36
	v_perm_b32 v5, v105, v105, 0x3020104
	v_add_nc_u32_e32 v0, v59, v93
	v_add_nc_u32_e32 v1, v61, v97
	;; [unrolled: 1-line block ×3, first 2 shown]
	v_perm_b32 v8, v103, v103, 0x3020104
	s_delay_alu instid0(VALU_DEP_4) | instskip(NEXT) | instid1(VALU_DEP_4)
	v_lshrrev_b32_e32 v2, s64, v0
	v_lshrrev_b32_e32 v57, s64, v1
	s_delay_alu instid0(VALU_DEP_2) | instskip(SKIP_1) | instid1(VALU_DEP_3)
	v_sub_nc_u32_e32 v3, v2, v94
	v_mad_u64_u32 v[0:1], null, s80, v2, v[59:60]
	v_mul_lo_u32 v60, s80, v57
	v_sub_nc_u32_e32 v1, v57, v2
	s_delay_alu instid0(VALU_DEP_4) | instskip(NEXT) | instid1(VALU_DEP_4)
	v_mul_lo_u32 v94, v3, s58
	v_sub_nc_u32_e32 v2, v0, v92
	s_delay_alu instid0(VALU_DEP_3) | instskip(SKIP_1) | instid1(VALU_DEP_4)
	v_mul_lo_u32 v97, v1, s58
	v_add_nc_u32_e32 v3, v61, v60
	v_mul_lo_u32 v1, v94, s17
	s_delay_alu instid0(VALU_DEP_4) | instskip(NEXT) | instid1(VALU_DEP_3)
	v_mul_lo_u32 v2, v2, s18
	v_sub_nc_u32_e32 v0, v3, v0
	v_perm_b32 v3, v101, v101, 0x3020104
	v_mul_lo_u32 v6, v97, s17
	s_delay_alu instid0(VALU_DEP_3) | instskip(SKIP_1) | instid1(VALU_DEP_1)
	v_mul_lo_u32 v7, v0, s18
	v_add3_u32 v2, v2, v1, v96
	v_add3_u32 v58, v7, v6, v2
	s_waitcnt vmcnt(0)
	v_add_co_u32 v0, vcc_lo, v20, v34
	v_add_co_ci_u32_e32 v1, vcc_lo, 0, v21, vcc_lo
	s_clause 0x7
	flat_store_b32 v[0:1], v3
	flat_store_b32 v[0:1], v100 offset:512
	flat_store_b32 v[0:1], v4 offset:1024
	flat_store_b32 v[0:1], v98 offset:1536
	flat_store_b32 v[0:1], v5 offset:2048
	flat_store_b32 v[0:1], v104 offset:2560
	flat_store_b32 v[0:1], v8 offset:3072
	flat_store_b32 v[0:1], v102 offset:3584
	s_clause 0x1
	buffer_load_b128 v[0:3], v2, s[40:43], 0 offen
	buffer_load_b128 v[4:7], v58, s[40:43], 0 offen
	s_clause 0x1
	buffer_load_b128 v[8:11], v9, s[44:47], 0 offen
	buffer_load_b128 v[12:15], v12, s[44:47], 0 offen
	s_waitcnt vmcnt(0) lgkmcnt(0)
	s_waitcnt_vscnt null, 0x0
	s_barrier
	s_clause 0x1
	scratch_load_b32 v16, off, off offset:80
	scratch_load_b32 v22, off, off offset:112
	s_clause 0x3
	scratch_store_b128 off, v[38:41], off
	scratch_store_b128 off, v[38:41], off offset:16
	scratch_store_b128 off, v[38:41], off offset:32
	;; [unrolled: 1-line block ×3, first 2 shown]
	s_waitcnt vmcnt(1)
	v_ashrrev_i32_e32 v17, 31, v16
	v_add_co_u32 v32, vcc_lo, v32, v16
	s_waitcnt vmcnt(0)
	v_ashrrev_i32_e32 v23, 31, v22
	s_delay_alu instid0(VALU_DEP_3) | instskip(SKIP_1) | instid1(VALU_DEP_3)
	v_add_co_ci_u32_e32 v33, vcc_lo, v33, v17, vcc_lo
	v_add_co_u32 v24, vcc_lo, v20, v22
	v_add_co_ci_u32_e32 v25, vcc_lo, v21, v23, vcc_lo
	flat_load_b128 v[16:19], v[32:33]
	v_cmp_gt_i32_e32 vcc_lo, s67, v59
	s_waitcnt vmcnt(0) lgkmcnt(0)
	scratch_store_b128 off, v[16:19], off
	flat_load_b128 v[20:23], v[24:25]
	s_waitcnt vmcnt(0) lgkmcnt(0)
	scratch_store_b128 off, v[20:23], off offset:32
	flat_load_b128 v[24:27], v[24:25] offset:256
	s_clause 0x7
	scratch_load_b128 v[28:31], off, off offset:144
	scratch_load_b128 v[62:65], off, off offset:176
	;; [unrolled: 1-line block ×8, first 2 shown]
	s_waitcnt vmcnt(8) lgkmcnt(0)
	scratch_store_b128 off, v[24:27], off offset:48
	flat_load_b128 v[90:93], v[32:33] offset:256
	v_add_nc_u32_e32 v33, v94, v95
	v_add_nc_u32_e32 v94, s69, v44
	v_mul_lo_u32 v95, v57, s63
	s_delay_alu instid0(VALU_DEP_3) | instskip(SKIP_3) | instid1(VALU_DEP_3)
	v_cmp_le_i32_e64 s5, s21, v33
	v_cmp_gt_i32_e64 s6, s20, v33
	v_add_nc_u32_e32 v59, v97, v33
	v_cmp_gt_i32_e64 s10, s61, v94
	s_and_b32 s5, s5, s6
	s_delay_alu instid0(VALU_DEP_2)
	v_cmp_le_i32_e64 s7, s21, v59
	s_and_b32 s5, vcc_lo, s5
	v_cmp_gt_i32_e64 s8, s20, v59
	s_and_b32 vcc_lo, s2, s5
	v_dual_cndmask_b32 v97, 0, v0 :: v_dual_add_nc_u32 v32, s69, v45
	v_cndmask_b32_e32 v94, 0, v3, vcc_lo
	v_cmp_gt_i32_e64 s4, s67, v61
	s_and_b32 s6, s7, s8
	s_delay_alu instid0(VALU_DEP_3)
	v_cmp_gt_i32_e64 s9, s61, v32
	v_sub_nc_u32_e32 v61, v56, v95
	v_cndmask_b32_e32 v95, 0, v2, vcc_lo
	s_and_b32 s4, s4, s6
	v_cndmask_b32_e32 v96, 0, v1, vcc_lo
	s_and_b32 vcc_lo, s2, s4
	s_waitcnt vmcnt(8)
	v_dot4_i32_iu8 v0, v16, v20, v28 neg_lo:[1,1,0]
	v_dual_cndmask_b32 v98, 0, v7 :: v_dual_cndmask_b32 v99, 0, v6
	v_dual_cndmask_b32 v100, 0, v5 :: v_dual_cndmask_b32 v101, 0, v4
	s_and_b32 vcc_lo, s3, s9
	v_dot4_i32_iu8 v1, v16, v21, v29 neg_lo:[1,1,0]
	v_dual_cndmask_b32 v102, 0, v11 :: v_dual_cndmask_b32 v103, 0, v10
	v_dual_cndmask_b32 v104, 0, v9 :: v_dual_cndmask_b32 v105, 0, v8
	s_and_b32 vcc_lo, s3, s10
	v_dot4_i32_iu8 v2, v16, v22, v30 neg_lo:[1,1,0]
	v_dot4_i32_iu8 v3, v16, v23, v31 neg_lo:[1,1,0]
	v_dual_cndmask_b32 v106, 0, v15 :: v_dual_cndmask_b32 v107, 0, v14
	v_dual_cndmask_b32 v108, 0, v13 :: v_dual_cndmask_b32 v109, 0, v12
	s_waitcnt vmcnt(7)
	v_dot4_i32_iu8 v4, v17, v20, v62 neg_lo:[1,1,0]
	v_dot4_i32_iu8 v5, v17, v21, v63 neg_lo:[1,1,0]
	v_dot4_i32_iu8 v6, v17, v22, v64 neg_lo:[1,1,0]
	v_dot4_i32_iu8 v7, v17, v23, v65 neg_lo:[1,1,0]
	s_waitcnt vmcnt(6)
	v_dot4_i32_iu8 v8, v18, v20, v66 neg_lo:[1,1,0]
	v_dot4_i32_iu8 v9, v18, v21, v67 neg_lo:[1,1,0]
	v_dot4_i32_iu8 v10, v18, v22, v68 neg_lo:[1,1,0]
	v_dot4_i32_iu8 v11, v18, v23, v69 neg_lo:[1,1,0]
	;; [unrolled: 5-line block ×7, first 2 shown]
	s_clause 0x7
	scratch_store_b128 off, v[0:3], off offset:144
	scratch_store_b128 off, v[20:23], off offset:160
	;; [unrolled: 1-line block ×8, first 2 shown]
	s_waitcnt vmcnt(0) lgkmcnt(0)
	scratch_store_b128 off, v[90:93], off offset:16
	v_mov_b32_e32 v4, s72
	v_dual_mov_b32 v0, s48 :: v_dual_mov_b32 v1, s11
	v_mov_b32_e32 v6, s73
	v_dual_mov_b32 v2, s49 :: v_dual_mov_b32 v3, s51
	v_dual_mov_b32 v8, s15 :: v_dual_mov_b32 v5, s74
	;; [unrolled: 1-line block ×3, first 2 shown]
	v_mov_b32_e32 v9, s27
	v_mov_b32_e32 v11, s50
	s_swappc_b64 s[30:31], s[22:23]
	s_clause 0xe
	scratch_load_b32 v74, off, off offset:16
	scratch_load_b32 v75, off, off offset:32
	scratch_load_b128 v[2:5], off, off offset:272
	scratch_load_b128 v[6:9], off, off offset:32
	;; [unrolled: 1-line block ×6, first 2 shown]
	scratch_load_b32 v10, off, off offset:48
	scratch_load_b128 v[26:29], off, off offset:288
	scratch_load_b128 v[30:33], off, off offset:48
	;; [unrolled: 1-line block ×5, first 2 shown]
	scratch_load_b64 v[0:1], off, off offset:400
	v_perm_b32 v76, v97, v97, 0x3020104
	v_perm_b32 v77, v95, v95, 0x3020104
	;; [unrolled: 1-line block ×4, first 2 shown]
	v_add_nc_u32_e32 v36, s78, v36
	v_add_nc_u32_e32 v55, s79, v55
	v_add_nc_u32_e32 v54, s79, v54
	v_add_nc_u32_e32 v53, s79, v53
	v_add_nc_u32_e32 v52, s79, v52
	s_add_i32 s76, s76, 32
	s_add_i32 s69, s69, s78
	;; [unrolled: 1-line block ×3, first 2 shown]
	s_cmp_lt_i32 s76, s77
	s_waitcnt vmcnt(12)
	v_dot4_i32_iu8 v2, v74, v75, v2 neg_lo:[1,1,0]
	s_waitcnt vmcnt(11)
	v_dot4_i32_iu8 v3, v74, v7, v3 neg_lo:[1,1,0]
	v_dot4_i32_iu8 v4, v74, v8, v4 neg_lo:[1,1,0]
	v_dot4_i32_iu8 v5, v74, v9, v5 neg_lo:[1,1,0]
	s_waitcnt vmcnt(9)
	v_dot4_i32_iu8 v15, v11, v7, v15 neg_lo:[1,1,0]
	v_dot4_i32_iu8 v16, v11, v8, v16 neg_lo:[1,1,0]
	;; [unrolled: 4-line block ×4, first 2 shown]
	v_dot4_i32_iu8 v8, v13, v8, v24 neg_lo:[1,1,0]
	v_dot4_i32_iu8 v9, v13, v9, v25 neg_lo:[1,1,0]
	s_waitcnt vmcnt(5)
	v_dot4_i32_iu8 v22, v74, v10, v26 neg_lo:[1,1,0]
	s_waitcnt vmcnt(4)
	v_dot4_i32_iu8 v23, v74, v31, v27 neg_lo:[1,1,0]
	v_dot4_i32_iu8 v24, v74, v32, v28 neg_lo:[1,1,0]
	;; [unrolled: 1-line block ×4, first 2 shown]
	s_waitcnt vmcnt(3)
	v_dot4_i32_iu8 v26, v11, v10, v62 neg_lo:[1,1,0]
	v_dot4_i32_iu8 v27, v11, v31, v63 neg_lo:[1,1,0]
	;; [unrolled: 1-line block ×4, first 2 shown]
	s_waitcnt vmcnt(0)
	v_add_co_u32 v30, vcc_lo, v0, v34
	v_dot4_i32_iu8 v18, v12, v75, v18 neg_lo:[1,1,0]
	v_dot4_i32_iu8 v62, v12, v10, v66 neg_lo:[1,1,0]
	;; [unrolled: 1-line block ×9, first 2 shown]
	v_add_co_ci_u32_e32 v31, vcc_lo, 0, v1, vcc_lo
	s_clause 0x7
	scratch_store_b128 off, v[2:5], off offset:272
	scratch_store_b128 off, v[22:25], off offset:288
	;; [unrolled: 1-line block ×8, first 2 shown]
	s_clause 0x7
	flat_store_b32 v[30:31], v76
	flat_store_b32 v[30:31], v96 offset:512
	flat_store_b32 v[30:31], v77 offset:1024
	;; [unrolled: 1-line block ×7, first 2 shown]
	scratch_load_b64 v[2:3], off, off offset:416
	v_perm_b32 v6, v105, v105, 0x3020104
	v_perm_b32 v7, v103, v103, 0x3020104
	;; [unrolled: 1-line block ×4, first 2 shown]
	s_waitcnt vmcnt(0)
	v_add_co_u32 v4, vcc_lo, v2, v34
	v_add_co_ci_u32_e32 v5, vcc_lo, 0, v3, vcc_lo
	s_clause 0x7
	flat_store_b32 v[4:5], v6
	flat_store_b32 v[4:5], v104 offset:512
	flat_store_b32 v[4:5], v7 offset:1024
	;; [unrolled: 1-line block ×7, first 2 shown]
	s_cbranch_scc1 .LBB2_1
; %bb.2:
	s_waitcnt lgkmcnt(0)
	s_waitcnt_vscnt null, 0x0
	s_barrier
	s_clause 0x1
	scratch_load_b32 v4, off, off offset:80
	scratch_load_b32 v8, off, off offset:112
	s_mov_b32 s4, 0
	v_add3_u32 v56, s71, s36, v42
	s_mov_b32 s7, s4
	s_mov_b32 s5, s4
	;; [unrolled: 1-line block ×3, first 2 shown]
	s_delay_alu instid0(SALU_CYCLE_1)
	v_dual_mov_b32 v41, s7 :: v_dual_mov_b32 v40, s6
	v_dual_mov_b32 v39, s5 :: v_dual_mov_b32 v38, s4
	s_clause 0x3
	scratch_store_b128 off, v[38:41], off
	scratch_store_b128 off, v[38:41], off offset:16
	scratch_store_b128 off, v[38:41], off offset:32
	;; [unrolled: 1-line block ×3, first 2 shown]
	v_mul_hi_u32 v12, v56, s66
	v_add_nc_u32_e32 v80, s68, v56
	v_add3_u32 v17, v42, v60, s36
	s_mul_i32 s65, s65, 12
	s_load_b64 s[30:31], s[0:1], 0x10
	s_mul_i32 s0, s28, s55
	v_mul_hi_u32 v13, v80, s66
	s_mul_hi_u32 s1, s28, s62
	v_add_nc_u32_e32 v12, v56, v12
	s_add_u32 s12, s12, s70
	s_mul_i32 s4, s29, s62
	s_addc_u32 s13, s13, s24
	s_add_i32 s0, s1, s0
	v_lshrrev_b32_e32 v14, s64, v12
	v_add_nc_u32_e32 v13, v80, v13
	s_mul_i32 s10, s28, s62
	s_mov_b64 s[8:9], src_private_base
	s_delay_alu instid0(VALU_DEP_2) | instskip(SKIP_2) | instid1(VALU_DEP_2)
	v_mul_lo_u32 v12, v14, s63
	v_sub_nc_u32_e32 v15, v14, v57
	v_lshrrev_b32_e32 v16, s64, v13
	v_mul_lo_u32 v42, v15, s58
	s_delay_alu instid0(VALU_DEP_2) | instskip(SKIP_1) | instid1(VALU_DEP_2)
	v_sub_nc_u32_e32 v15, v16, v14
	v_sub_nc_u32_e32 v12, v56, v12
	v_mul_lo_u32 v57, v15, s58
	s_delay_alu instid0(VALU_DEP_2) | instskip(SKIP_3) | instid1(VALU_DEP_3)
	v_mad_u64_u32 v[13:14], null, v16, s63, v[12:13]
	v_sub_nc_u32_e32 v12, v12, v17
	v_add3_u32 v14, v43, v36, s65
	v_mul_lo_u32 v16, v42, s17
	v_mul_lo_u32 v17, v12, s18
	v_sub_nc_u32_e32 v18, v80, v13
	s_delay_alu instid0(VALU_DEP_4)
	v_add_nc_u32_e32 v19, s25, v14
	v_mul_lo_u32 v20, v57, s17
	s_add_i32 s17, s0, s4
	s_waitcnt lgkmcnt(0)
	s_add_u32 s24, s30, s10
	v_mul_lo_u32 v21, v18, s18
	v_add3_u32 v22, v17, v16, v58
	s_delay_alu instid0(VALU_DEP_1)
	v_add3_u32 v24, v21, v20, v22
	s_waitcnt vmcnt(1)
	v_ashrrev_i32_e32 v5, 31, v4
	v_add_co_u32 v32, vcc_lo, v0, v4
	s_waitcnt vmcnt(0)
	v_ashrrev_i32_e32 v0, 31, v8
	s_delay_alu instid0(VALU_DEP_3) | instskip(SKIP_1) | instid1(VALU_DEP_3)
	v_add_co_ci_u32_e32 v33, vcc_lo, v1, v5, vcc_lo
	v_add_co_u32 v8, vcc_lo, v2, v8
	v_add_co_ci_u32_e32 v9, vcc_lo, v3, v0, vcc_lo
	flat_load_b128 v[4:7], v[32:33]
	v_cmp_gt_i32_e32 vcc_lo, s67, v56
	s_waitcnt vmcnt(0) lgkmcnt(0)
	scratch_store_b128 off, v[4:7], off
	flat_load_b128 v[0:3], v[8:9]
	s_waitcnt vmcnt(0) lgkmcnt(0)
	scratch_store_b128 off, v[0:3], off offset:32
	flat_load_b128 v[8:11], v[8:9] offset:256
	s_clause 0x1
	buffer_load_b128 v[12:15], v14, s[44:47], 0 offen
	buffer_load_b128 v[16:19], v19, s[44:47], 0 offen
	s_clause 0x1
	buffer_load_b128 v[20:23], v22, s[40:43], 0 offen
	buffer_load_b128 v[24:27], v24, s[40:43], 0 offen
	s_clause 0x7
	scratch_load_b128 v[28:31], off, off offset:144
	scratch_load_b128 v[44:47], off, off offset:176
	;; [unrolled: 1-line block ×8, first 2 shown]
	s_waitcnt vmcnt(12) lgkmcnt(0)
	scratch_store_b128 off, v[8:11], off offset:48
	flat_load_b128 v[76:79], v[32:33] offset:256
	v_add_nc_u32_e32 v33, v42, v59
	v_add3_u32 v32, s65, s69, v43
	s_waitcnt vmcnt(2)
	v_dot4_i32_iu8 v42, v6, v8, v68 neg_lo:[1,1,0]
	v_dot4_i32_iu8 v43, v6, v9, v69 neg_lo:[1,1,0]
	v_cmp_le_i32_e64 s4, s21, v33
	v_cmp_gt_i32_e64 s5, s20, v33
	v_cmp_gt_i32_e64 s0, s61, v32
	v_add_nc_u32_e32 v32, s25, v32
	s_addc_u32 s25, s31, s17
	s_delay_alu instid0(VALU_DEP_3) | instskip(NEXT) | instid1(SALU_CYCLE_1)
	s_and_b32 s4, s4, s5
	s_and_b32 s4, vcc_lo, s4
	s_and_b32 vcc_lo, s3, s0
	v_cmp_gt_i32_e64 s8, s61, v32
	v_cndmask_b32_e32 v56, 0, v14, vcc_lo
	v_add_nc_u32_e32 v36, v57, v33
	v_cndmask_b32_e32 v57, 0, v13, vcc_lo
	v_cmp_gt_i32_e64 s1, s67, v80
	v_cndmask_b32_e32 v58, 0, v12, vcc_lo
	v_dot4_i32_iu8 v12, v4, v0, v28 neg_lo:[1,1,0]
	v_cmp_le_i32_e64 s6, s21, v36
	v_cmp_gt_i32_e64 s7, s20, v36
	v_cndmask_b32_e32 v36, 0, v15, vcc_lo
	s_and_b32 vcc_lo, s3, s8
	v_dot4_i32_iu8 v13, v4, v1, v29 neg_lo:[1,1,0]
	v_cndmask_b32_e32 v59, 0, v19, vcc_lo
	s_and_b32 s5, s6, s7
	v_cndmask_b32_e32 v80, 0, v18, vcc_lo
	s_and_b32 s1, s1, s5
	v_dual_cndmask_b32 v81, 0, v17 :: v_dual_cndmask_b32 v82, 0, v16
	s_and_b32 vcc_lo, s2, s4
	v_dot4_i32_iu8 v14, v4, v2, v30 neg_lo:[1,1,0]
	v_dual_cndmask_b32 v83, 0, v23 :: v_dual_cndmask_b32 v84, 0, v22
	v_dual_cndmask_b32 v85, 0, v21 :: v_dual_cndmask_b32 v86, 0, v20
	s_and_b32 vcc_lo, s2, s1
	v_dot4_i32_iu8 v15, v4, v3, v31 neg_lo:[1,1,0]
	v_dual_cndmask_b32 v87, 0, v27 :: v_dual_cndmask_b32 v88, 0, v26
	v_dual_cndmask_b32 v89, 0, v25 :: v_dual_cndmask_b32 v90, 0, v24
	v_dot4_i32_iu8 v24, v4, v8, v60 neg_lo:[1,1,0]
	v_dot4_i32_iu8 v25, v4, v9, v61 neg_lo:[1,1,0]
	;; [unrolled: 1-line block ×22, first 2 shown]
	s_waitcnt vmcnt(1)
	v_dot4_i32_iu8 v4, v7, v8, v72 neg_lo:[1,1,0]
	v_dot4_i32_iu8 v5, v7, v9, v73 neg_lo:[1,1,0]
	v_mov_b32_e32 v9, s27
	v_dot4_i32_iu8 v6, v7, v10, v74 neg_lo:[1,1,0]
	v_dot4_i32_iu8 v7, v7, v11, v75 neg_lo:[1,1,0]
	v_mov_b32_e32 v8, s15
	v_mov_b32_e32 v10, s52
	s_clause 0x7
	scratch_store_b128 off, v[12:15], off offset:144
	scratch_store_b128 off, v[24:27], off offset:160
	;; [unrolled: 1-line block ×8, first 2 shown]
	s_waitcnt vmcnt(0) lgkmcnt(0)
	scratch_store_b128 off, v[76:79], off offset:16
	v_dual_mov_b32 v0, s48 :: v_dual_mov_b32 v5, s9
	v_dual_mov_b32 v1, s11 :: v_dual_mov_b32 v2, s53
	v_mov_b32_e32 v7, s9
	v_dual_mov_b32 v3, s59 :: v_dual_mov_b32 v4, 0
	v_dual_mov_b32 v11, s54 :: v_dual_mov_b32 v6, 32
	s_swappc_b64 s[30:31], s[22:23]
	s_clause 0xe
	scratch_load_b32 v54, off, off offset:16
	scratch_load_b32 v55, off, off offset:32
	scratch_load_b128 v[0:3], off, off offset:272
	scratch_load_b128 v[4:7], off, off offset:32
	;; [unrolled: 1-line block ×6, first 2 shown]
	scratch_load_b32 v8, off, off offset:48
	scratch_load_b128 v[24:27], off, off offset:288
	scratch_load_b128 v[28:31], off, off offset:48
	;; [unrolled: 1-line block ×5, first 2 shown]
	scratch_load_b64 v[32:33], off, off offset:432
	v_perm_b32 v60, v86, v86, 0x3020104
	v_perm_b32 v61, v84, v84, 0x3020104
	;; [unrolled: 1-line block ×4, first 2 shown]
	s_waitcnt vmcnt(12)
	v_dot4_i32_iu8 v0, v54, v55, v0 neg_lo:[1,1,0]
	s_waitcnt vmcnt(11)
	v_dot4_i32_iu8 v1, v54, v5, v1 neg_lo:[1,1,0]
	v_dot4_i32_iu8 v2, v54, v6, v2 neg_lo:[1,1,0]
	v_dot4_i32_iu8 v3, v54, v7, v3 neg_lo:[1,1,0]
	s_waitcnt vmcnt(9)
	v_dot4_i32_iu8 v13, v9, v5, v13 neg_lo:[1,1,0]
	v_dot4_i32_iu8 v14, v9, v6, v14 neg_lo:[1,1,0]
	;; [unrolled: 4-line block ×4, first 2 shown]
	v_dot4_i32_iu8 v6, v11, v6, v22 neg_lo:[1,1,0]
	v_dot4_i32_iu8 v7, v11, v7, v23 neg_lo:[1,1,0]
	s_waitcnt vmcnt(5)
	v_dot4_i32_iu8 v20, v54, v8, v24 neg_lo:[1,1,0]
	s_waitcnt vmcnt(4)
	v_dot4_i32_iu8 v21, v54, v29, v25 neg_lo:[1,1,0]
	v_dot4_i32_iu8 v22, v54, v30, v26 neg_lo:[1,1,0]
	;; [unrolled: 1-line block ×4, first 2 shown]
	s_waitcnt vmcnt(3)
	v_dot4_i32_iu8 v24, v9, v8, v42 neg_lo:[1,1,0]
	v_dot4_i32_iu8 v25, v9, v29, v43 neg_lo:[1,1,0]
	;; [unrolled: 1-line block ×4, first 2 shown]
	s_waitcnt vmcnt(0)
	v_add_co_u32 v28, vcc_lo, v32, v34
	v_dot4_i32_iu8 v16, v10, v55, v16 neg_lo:[1,1,0]
	v_dot4_i32_iu8 v42, v10, v8, v46 neg_lo:[1,1,0]
	v_dot4_i32_iu8 v43, v10, v29, v47 neg_lo:[1,1,0]
	v_dot4_i32_iu8 v44, v10, v30, v48 neg_lo:[1,1,0]
	v_dot4_i32_iu8 v45, v10, v31, v49 neg_lo:[1,1,0]
	v_dot4_i32_iu8 v8, v11, v8, v50 neg_lo:[1,1,0]
	v_dot4_i32_iu8 v9, v11, v29, v51 neg_lo:[1,1,0]
	v_dot4_i32_iu8 v10, v11, v30, v52 neg_lo:[1,1,0]
	v_dot4_i32_iu8 v11, v11, v31, v53 neg_lo:[1,1,0]
	v_add_co_ci_u32_e32 v29, vcc_lo, 0, v33, vcc_lo
	s_clause 0x7
	scratch_store_b128 off, v[0:3], off offset:272
	scratch_store_b128 off, v[20:23], off offset:288
	;; [unrolled: 1-line block ×8, first 2 shown]
	s_clause 0x7
	flat_store_b32 v[28:29], v60
	flat_store_b32 v[28:29], v85 offset:512
	flat_store_b32 v[28:29], v61 offset:1024
	;; [unrolled: 1-line block ×7, first 2 shown]
	scratch_load_b64 v[4:5], off, off offset:448
	v_perm_b32 v2, v58, v58, 0x3020104
	v_perm_b32 v3, v56, v56, 0x3020104
	v_perm_b32 v6, v82, v82, 0x3020104
	v_perm_b32 v7, v80, v80, 0x3020104
	s_waitcnt vmcnt(0)
	v_add_co_u32 v0, vcc_lo, v4, v34
	v_add_co_ci_u32_e32 v1, vcc_lo, 0, v5, vcc_lo
	s_clause 0x7
	flat_store_b32 v[0:1], v2
	flat_store_b32 v[0:1], v57 offset:512
	flat_store_b32 v[0:1], v3 offset:1024
	;; [unrolled: 1-line block ×7, first 2 shown]
	s_waitcnt lgkmcnt(0)
	s_waitcnt_vscnt null, 0x0
	s_barrier
	s_clause 0x1
	scratch_load_b32 v0, off, off offset:80
	scratch_load_b32 v6, off, off offset:112
	s_clause 0x3
	scratch_store_b128 off, v[38:41], off
	scratch_store_b128 off, v[38:41], off offset:16
	scratch_store_b128 off, v[38:41], off offset:32
	;; [unrolled: 1-line block ×3, first 2 shown]
	s_waitcnt vmcnt(1)
	v_ashrrev_i32_e32 v1, 31, v0
	v_add_co_u32 v32, vcc_lo, v32, v0
	s_waitcnt vmcnt(0)
	v_ashrrev_i32_e32 v7, 31, v6
	s_delay_alu instid0(VALU_DEP_3) | instskip(SKIP_1) | instid1(VALU_DEP_3)
	v_add_co_ci_u32_e32 v33, vcc_lo, v33, v1, vcc_lo
	v_add_co_u32 v8, vcc_lo, v4, v6
	v_add_co_ci_u32_e32 v9, vcc_lo, v5, v7, vcc_lo
	flat_load_b128 v[0:3], v[32:33]
	s_waitcnt vmcnt(0) lgkmcnt(0)
	scratch_store_b128 off, v[0:3], off
	flat_load_b128 v[4:7], v[8:9]
	s_waitcnt vmcnt(0) lgkmcnt(0)
	scratch_store_b128 off, v[4:7], off offset:32
	flat_load_b128 v[8:11], v[8:9] offset:256
	s_clause 0x7
	scratch_load_b128 v[12:15], off, off offset:144
	scratch_load_b128 v[16:19], off, off offset:176
	;; [unrolled: 1-line block ×8, first 2 shown]
	s_waitcnt vmcnt(8) lgkmcnt(0)
	scratch_store_b128 off, v[8:11], off offset:48
	flat_load_b128 v[50:53], v[32:33] offset:256
	s_waitcnt vmcnt(8)
	v_dot4_i32_iu8 v12, v0, v4, v12 neg_lo:[1,1,0]
	v_dot4_i32_iu8 v13, v0, v5, v13 neg_lo:[1,1,0]
	v_dot4_i32_iu8 v14, v0, v6, v14 neg_lo:[1,1,0]
	v_dot4_i32_iu8 v15, v0, v7, v15 neg_lo:[1,1,0]
	s_waitcnt vmcnt(7)
	v_dot4_i32_iu8 v16, v1, v4, v16 neg_lo:[1,1,0]
	v_dot4_i32_iu8 v17, v1, v5, v17 neg_lo:[1,1,0]
	v_dot4_i32_iu8 v18, v1, v6, v18 neg_lo:[1,1,0]
	v_dot4_i32_iu8 v19, v1, v7, v19 neg_lo:[1,1,0]
	;; [unrolled: 5-line block ×8, first 2 shown]
	v_dual_mov_b32 v8, s15 :: v_dual_mov_b32 v9, s27
	v_dual_mov_b32 v10, s39 :: v_dual_mov_b32 v11, s50
	s_clause 0x7
	scratch_store_b128 off, v[12:15], off offset:144
	scratch_store_b128 off, v[24:27], off offset:160
	;; [unrolled: 1-line block ×8, first 2 shown]
	s_waitcnt vmcnt(0) lgkmcnt(0)
	scratch_store_b128 off, v[50:53], off offset:16
	v_dual_mov_b32 v0, s48 :: v_dual_mov_b32 v1, s11
	v_dual_mov_b32 v2, s49 :: v_dual_mov_b32 v3, s51
	;; [unrolled: 1-line block ×4, first 2 shown]
	s_swappc_b64 s[30:31], s[22:23]
	s_clause 0xd
	scratch_load_b32 v34, off, off offset:16
	scratch_load_b32 v36, off, off offset:32
	scratch_load_b128 v[2:5], off, off offset:272
	scratch_load_b128 v[6:9], off, off offset:32
	scratch_load_b128 v[10:13], off, off offset:16
	scratch_load_b128 v[14:17], off, off offset:304
	scratch_load_b128 v[18:21], off, off offset:336
	scratch_load_b128 v[22:25], off, off offset:368
	scratch_load_b32 v10, off, off offset:48
	scratch_load_b128 v[26:29], off, off offset:288
	scratch_load_b128 v[30:33], off, off offset:48
	;; [unrolled: 1-line block ×5, first 2 shown]
	v_lshl_add_u32 v1, s37, 7, v35
	v_lshl_add_u32 v0, s38, 7, v37
	s_mov_b32 s27, 0x31004000
	s_lshl_b32 s3, s57, 6
	s_lshl_b32 s17, s35, 6
	s_waitcnt vmcnt(10)
	v_mul_lo_u32 v6, v1, s56
	v_cmp_gt_i32_e64 s0, s60, v0
	v_cmp_gt_i32_e64 s1, s33, v1
	v_add_nc_u32_e32 v72, 0x42, v1
	v_add_nc_u32_e32 v73, 0x43, v1
	s_add_i32 s20, s35, s34
	s_mov_b32 s15, s27
	s_and_b32 vcc_lo, s1, s0
	v_cmp_gt_i32_e64 s7, s16, v72
	v_cmp_gt_i32_e64 s5, s16, v73
	v_cmp_ge_i32_e64 s6, s16, v73
	v_cmp_ge_i32_e64 s8, s16, v72
	s_lshl_b32 s18, s34, 6
	v_dot4_i32_iu8 v2, v34, v36, v2 neg_lo:[1,1,0]
	v_mad_u64_u32 v[50:51], null, v0, s57, v[6:7]
	v_dot4_i32_iu8 v3, v34, v7, v3 neg_lo:[1,1,0]
	v_dot4_i32_iu8 v4, v34, v8, v4 neg_lo:[1,1,0]
	v_dot4_i32_iu8 v5, v34, v9, v5 neg_lo:[1,1,0]
	s_waitcnt vmcnt(8)
	v_dot4_i32_iu8 v15, v11, v7, v15 neg_lo:[1,1,0]
	v_dot4_i32_iu8 v16, v11, v8, v16 neg_lo:[1,1,0]
	v_dot4_i32_iu8 v17, v11, v9, v17 neg_lo:[1,1,0]
	s_waitcnt vmcnt(7)
	;; [unrolled: 4-line block ×3, first 2 shown]
	v_dot4_i32_iu8 v6, v13, v36, v22 neg_lo:[1,1,0]
	v_dot4_i32_iu8 v7, v13, v7, v23 neg_lo:[1,1,0]
	;; [unrolled: 1-line block ×4, first 2 shown]
	s_waitcnt vmcnt(4)
	v_dot4_i32_iu8 v22, v34, v10, v26 neg_lo:[1,1,0]
	s_waitcnt vmcnt(3)
	v_dot4_i32_iu8 v23, v34, v31, v27 neg_lo:[1,1,0]
	v_dot4_i32_iu8 v24, v34, v32, v28 neg_lo:[1,1,0]
	;; [unrolled: 1-line block ×4, first 2 shown]
	s_waitcnt vmcnt(2)
	v_dot4_i32_iu8 v26, v11, v10, v38 neg_lo:[1,1,0]
	v_dot4_i32_iu8 v27, v11, v31, v39 neg_lo:[1,1,0]
	;; [unrolled: 1-line block ×5, first 2 shown]
	s_waitcnt vmcnt(1)
	v_dot4_i32_iu8 v34, v12, v10, v42 neg_lo:[1,1,0]
	v_dot4_i32_iu8 v35, v12, v31, v43 neg_lo:[1,1,0]
	v_dot4_i32_iu8 v36, v12, v32, v44 neg_lo:[1,1,0]
	v_dot4_i32_iu8 v37, v12, v33, v45 neg_lo:[1,1,0]
	s_waitcnt vmcnt(0)
	v_dot4_i32_iu8 v10, v13, v10, v46 neg_lo:[1,1,0]
	v_dot4_i32_iu8 v11, v13, v31, v47 neg_lo:[1,1,0]
	;; [unrolled: 1-line block ×4, first 2 shown]
	s_clause 0x7
	scratch_store_b128 off, v[2:5], off offset:272
	scratch_store_b128 off, v[22:25], off offset:288
	;; [unrolled: 1-line block ×8, first 2 shown]
	buffer_load_b32 v6, v50, s[24:27], 0 offen
	scratch_load_b128 v[2:5], off, off offset:144
	s_waitcnt vmcnt(1)
	v_cndmask_b32_e32 v10, 0, v6, vcc_lo
	scratch_load_b128 v[6:9], off, off offset:160
	v_lshrrev_b32_e32 v11, 8, v10
	s_waitcnt vmcnt(1)
	s_delay_alu instid0(VALU_DEP_1) | instskip(NEXT) | instid1(VALU_DEP_1)
	v_add_nc_u16 v3, v11, v3
	v_bfe_i32 v3, v3, 0, 8
	s_delay_alu instid0(VALU_DEP_1) | instskip(NEXT) | instid1(VALU_DEP_1)
	v_max_i16 v3, v3, 0
	v_and_b32_e32 v3, 0xffff, v3
	v_lshrrev_b32_e32 v12, 16, v10
	v_lshrrev_b32_e32 v13, 24, v10
	v_add_nc_u16 v2, v10, v2
	v_add_nc_u32_e32 v10, s3, v50
	s_delay_alu instid0(VALU_DEP_4) | instskip(NEXT) | instid1(VALU_DEP_4)
	v_add_nc_u16 v4, v12, v4
	v_add_nc_u16 v5, v13, v5
	s_delay_alu instid0(VALU_DEP_4) | instskip(SKIP_1) | instid1(VALU_DEP_4)
	v_bfe_i32 v2, v2, 0, 8
	v_add_nc_u32_e32 v12, s56, v50
	v_bfe_i32 v4, v4, 0, 8
	s_delay_alu instid0(VALU_DEP_4) | instskip(NEXT) | instid1(VALU_DEP_4)
	v_bfe_i32 v5, v5, 0, 8
	v_max_i16 v2, v2, 0
	s_delay_alu instid0(VALU_DEP_3) | instskip(NEXT) | instid1(VALU_DEP_3)
	v_max_i16 v4, v4, 0
	v_max_i16 v5, v5, 0
	s_delay_alu instid0(VALU_DEP_3) | instskip(NEXT) | instid1(VALU_DEP_3)
	v_and_b32_e32 v2, 0xffff, v2
	v_and_b32_e32 v4, 0xffff, v4
	s_delay_alu instid0(VALU_DEP_3) | instskip(SKIP_3) | instid1(VALU_DEP_1)
	v_and_b32_e32 v5, 0xffff, v5
	scratch_store_b128 off, v[2:5], off offset:144
	buffer_load_b32 v3, v10, s[24:27], 0 offen
	v_add_nc_u32_e32 v2, 64, v0
	v_cmp_gt_i32_e32 vcc_lo, s60, v2
	s_and_b32 s1, s1, vcc_lo
	s_waitcnt vmcnt(0)
	v_cndmask_b32_e64 v3, 0, v3, s1
	s_delay_alu instid0(VALU_DEP_1) | instskip(SKIP_3) | instid1(VALU_DEP_4)
	v_lshrrev_b32_e32 v4, 8, v3
	v_lshrrev_b32_e32 v5, 16, v3
	;; [unrolled: 1-line block ×3, first 2 shown]
	v_add_nc_u16 v3, v3, v6
	v_add_nc_u16 v4, v4, v7
	s_delay_alu instid0(VALU_DEP_4) | instskip(NEXT) | instid1(VALU_DEP_4)
	v_add_nc_u16 v5, v5, v8
	v_add_nc_u16 v6, v10, v9
	s_delay_alu instid0(VALU_DEP_4) | instskip(NEXT) | instid1(VALU_DEP_4)
	v_bfe_i32 v3, v3, 0, 8
	v_bfe_i32 v4, v4, 0, 8
	s_delay_alu instid0(VALU_DEP_4) | instskip(NEXT) | instid1(VALU_DEP_4)
	v_bfe_i32 v5, v5, 0, 8
	v_bfe_i32 v6, v6, 0, 8
	s_delay_alu instid0(VALU_DEP_4) | instskip(NEXT) | instid1(VALU_DEP_4)
	v_max_i16 v3, v3, 0
	v_max_i16 v4, v4, 0
	s_delay_alu instid0(VALU_DEP_4) | instskip(NEXT) | instid1(VALU_DEP_4)
	v_max_i16 v5, v5, 0
	v_max_i16 v6, v6, 0
	s_delay_alu instid0(VALU_DEP_4) | instskip(NEXT) | instid1(VALU_DEP_4)
	v_and_b32_e32 v3, 0xffff, v3
	v_and_b32_e32 v4, 0xffff, v4
	s_delay_alu instid0(VALU_DEP_4) | instskip(NEXT) | instid1(VALU_DEP_4)
	v_and_b32_e32 v5, 0xffff, v5
	v_and_b32_e32 v6, 0xffff, v6
	scratch_store_b128 off, v[3:6], off offset:160
	buffer_load_b32 v8, v12, s[24:27], 0 offen
	scratch_load_b128 v[4:7], off, off offset:176
	v_or_b32_e32 v3, 1, v1
	s_delay_alu instid0(VALU_DEP_1) | instskip(NEXT) | instid1(VALU_DEP_1)
	v_cmp_gt_i32_e64 s1, s33, v3
	s_and_b32 s2, s1, s0
	s_and_b32 s1, s1, vcc_lo
	s_waitcnt vmcnt(1)
	v_cndmask_b32_e64 v13, 0, v8, s2
	scratch_load_b128 v[8:11], off, off offset:192
	v_lshrrev_b32_e32 v14, 8, v13
	v_lshrrev_b32_e32 v15, 16, v13
	;; [unrolled: 1-line block ×3, first 2 shown]
	s_waitcnt vmcnt(1)
	v_add_nc_u16 v4, v13, v4
	v_add_nc_u32_e32 v13, s3, v12
	v_add_nc_u16 v5, v14, v5
	v_add_nc_u16 v6, v15, v6
	;; [unrolled: 1-line block ×3, first 2 shown]
	v_bfe_i32 v4, v4, 0, 8
	s_delay_alu instid0(VALU_DEP_4) | instskip(NEXT) | instid1(VALU_DEP_4)
	v_bfe_i32 v5, v5, 0, 8
	v_bfe_i32 v6, v6, 0, 8
	s_delay_alu instid0(VALU_DEP_4) | instskip(NEXT) | instid1(VALU_DEP_4)
	v_bfe_i32 v7, v7, 0, 8
	v_max_i16 v4, v4, 0
	s_delay_alu instid0(VALU_DEP_4) | instskip(NEXT) | instid1(VALU_DEP_4)
	v_max_i16 v5, v5, 0
	v_max_i16 v6, v6, 0
	s_delay_alu instid0(VALU_DEP_4) | instskip(NEXT) | instid1(VALU_DEP_4)
	v_max_i16 v7, v7, 0
	v_and_b32_e32 v4, 0xffff, v4
	s_delay_alu instid0(VALU_DEP_4) | instskip(NEXT) | instid1(VALU_DEP_4)
	v_and_b32_e32 v5, 0xffff, v5
	v_and_b32_e32 v6, 0xffff, v6
	s_delay_alu instid0(VALU_DEP_4)
	v_and_b32_e32 v7, 0xffff, v7
	scratch_store_b128 off, v[4:7], off offset:176
	buffer_load_b32 v4, v13, s[24:27], 0 offen
	v_add_nc_u32_e32 v13, s56, v12
	s_waitcnt vmcnt(0)
	v_cndmask_b32_e64 v4, 0, v4, s1
	s_delay_alu instid0(VALU_DEP_1) | instskip(SKIP_3) | instid1(VALU_DEP_4)
	v_lshrrev_b32_e32 v5, 8, v4
	v_lshrrev_b32_e32 v6, 16, v4
	;; [unrolled: 1-line block ×3, first 2 shown]
	v_add_nc_u16 v4, v4, v8
	v_add_nc_u16 v5, v5, v9
	s_delay_alu instid0(VALU_DEP_4) | instskip(NEXT) | instid1(VALU_DEP_4)
	v_add_nc_u16 v6, v6, v10
	v_add_nc_u16 v7, v7, v11
	s_delay_alu instid0(VALU_DEP_4) | instskip(NEXT) | instid1(VALU_DEP_4)
	v_bfe_i32 v4, v4, 0, 8
	v_bfe_i32 v5, v5, 0, 8
	s_delay_alu instid0(VALU_DEP_4) | instskip(NEXT) | instid1(VALU_DEP_4)
	v_bfe_i32 v6, v6, 0, 8
	v_bfe_i32 v7, v7, 0, 8
	s_delay_alu instid0(VALU_DEP_4) | instskip(NEXT) | instid1(VALU_DEP_4)
	v_max_i16 v4, v4, 0
	v_max_i16 v5, v5, 0
	s_delay_alu instid0(VALU_DEP_4) | instskip(NEXT) | instid1(VALU_DEP_4)
	v_max_i16 v6, v6, 0
	v_max_i16 v7, v7, 0
	s_delay_alu instid0(VALU_DEP_4) | instskip(NEXT) | instid1(VALU_DEP_4)
	v_and_b32_e32 v4, 0xffff, v4
	v_and_b32_e32 v5, 0xffff, v5
	s_delay_alu instid0(VALU_DEP_4) | instskip(NEXT) | instid1(VALU_DEP_4)
	v_and_b32_e32 v6, 0xffff, v6
	v_and_b32_e32 v7, 0xffff, v7
	scratch_store_b128 off, v[4:7], off offset:192
	buffer_load_b32 v9, v13, s[24:27], 0 offen
	scratch_load_b128 v[5:8], off, off offset:208
	v_or_b32_e32 v4, 2, v1
	s_delay_alu instid0(VALU_DEP_1) | instskip(NEXT) | instid1(VALU_DEP_1)
	v_cmp_gt_i32_e64 s1, s33, v4
	s_and_b32 s2, s1, s0
	s_and_b32 s1, s1, vcc_lo
	s_waitcnt vmcnt(1)
	v_cndmask_b32_e64 v14, 0, v9, s2
	scratch_load_b128 v[9:12], off, off offset:224
	v_lshrrev_b32_e32 v15, 8, v14
	v_lshrrev_b32_e32 v16, 16, v14
	;; [unrolled: 1-line block ×3, first 2 shown]
	s_waitcnt vmcnt(1)
	v_add_nc_u16 v5, v14, v5
	v_add_nc_u32_e32 v14, s3, v13
	v_add_nc_u16 v6, v15, v6
	v_add_nc_u16 v7, v16, v7
	;; [unrolled: 1-line block ×3, first 2 shown]
	v_bfe_i32 v5, v5, 0, 8
	s_delay_alu instid0(VALU_DEP_4) | instskip(NEXT) | instid1(VALU_DEP_4)
	v_bfe_i32 v6, v6, 0, 8
	v_bfe_i32 v7, v7, 0, 8
	s_delay_alu instid0(VALU_DEP_4) | instskip(NEXT) | instid1(VALU_DEP_4)
	v_bfe_i32 v8, v8, 0, 8
	v_max_i16 v5, v5, 0
	s_delay_alu instid0(VALU_DEP_4) | instskip(NEXT) | instid1(VALU_DEP_4)
	v_max_i16 v6, v6, 0
	v_max_i16 v7, v7, 0
	s_delay_alu instid0(VALU_DEP_4) | instskip(NEXT) | instid1(VALU_DEP_4)
	v_max_i16 v8, v8, 0
	v_and_b32_e32 v5, 0xffff, v5
	s_delay_alu instid0(VALU_DEP_4) | instskip(NEXT) | instid1(VALU_DEP_4)
	v_and_b32_e32 v6, 0xffff, v6
	v_and_b32_e32 v7, 0xffff, v7
	s_delay_alu instid0(VALU_DEP_4)
	v_and_b32_e32 v8, 0xffff, v8
	scratch_store_b128 off, v[5:8], off offset:208
	buffer_load_b32 v5, v14, s[24:27], 0 offen
	v_add_nc_u32_e32 v14, s56, v13
	s_waitcnt vmcnt(0)
	v_cndmask_b32_e64 v5, 0, v5, s1
	s_delay_alu instid0(VALU_DEP_1) | instskip(SKIP_3) | instid1(VALU_DEP_4)
	v_lshrrev_b32_e32 v6, 8, v5
	v_lshrrev_b32_e32 v7, 16, v5
	;; [unrolled: 1-line block ×3, first 2 shown]
	v_add_nc_u16 v5, v5, v9
	v_add_nc_u16 v6, v6, v10
	s_delay_alu instid0(VALU_DEP_4) | instskip(NEXT) | instid1(VALU_DEP_4)
	v_add_nc_u16 v7, v7, v11
	v_add_nc_u16 v8, v8, v12
	s_delay_alu instid0(VALU_DEP_4) | instskip(NEXT) | instid1(VALU_DEP_4)
	v_bfe_i32 v5, v5, 0, 8
	v_bfe_i32 v6, v6, 0, 8
	s_delay_alu instid0(VALU_DEP_4) | instskip(NEXT) | instid1(VALU_DEP_4)
	v_bfe_i32 v7, v7, 0, 8
	v_bfe_i32 v8, v8, 0, 8
	s_delay_alu instid0(VALU_DEP_4) | instskip(NEXT) | instid1(VALU_DEP_4)
	v_max_i16 v5, v5, 0
	v_max_i16 v6, v6, 0
	s_delay_alu instid0(VALU_DEP_4) | instskip(NEXT) | instid1(VALU_DEP_4)
	v_max_i16 v7, v7, 0
	v_max_i16 v8, v8, 0
	s_delay_alu instid0(VALU_DEP_4) | instskip(NEXT) | instid1(VALU_DEP_4)
	v_and_b32_e32 v5, 0xffff, v5
	v_and_b32_e32 v6, 0xffff, v6
	s_delay_alu instid0(VALU_DEP_4) | instskip(NEXT) | instid1(VALU_DEP_4)
	v_and_b32_e32 v7, 0xffff, v7
	v_and_b32_e32 v8, 0xffff, v8
	scratch_store_b128 off, v[5:8], off offset:224
	buffer_load_b32 v10, v14, s[24:27], 0 offen
	scratch_load_b128 v[6:9], off, off offset:240
	v_or_b32_e32 v5, 3, v1
	s_delay_alu instid0(VALU_DEP_1) | instskip(SKIP_1) | instid1(VALU_DEP_2)
	v_cmp_gt_i32_e64 s1, s33, v5
	v_cmp_gt_i32_e64 s4, s16, v5
	s_and_b32 s2, s1, s0
	s_and_b32 s1, s1, vcc_lo
	s_waitcnt vmcnt(1)
	v_cndmask_b32_e64 v15, 0, v10, s2
	scratch_load_b128 v[10:13], off, off offset:256
	v_lshrrev_b32_e32 v16, 8, v15
	v_lshrrev_b32_e32 v17, 16, v15
	;; [unrolled: 1-line block ×3, first 2 shown]
	s_waitcnt vmcnt(1)
	v_add_nc_u16 v6, v15, v6
	v_add_nc_u32_e32 v15, s3, v14
	v_add_nc_u16 v7, v16, v7
	v_add_nc_u16 v8, v17, v8
	;; [unrolled: 1-line block ×3, first 2 shown]
	v_bfe_i32 v6, v6, 0, 8
	s_delay_alu instid0(VALU_DEP_4) | instskip(NEXT) | instid1(VALU_DEP_4)
	v_bfe_i32 v7, v7, 0, 8
	v_bfe_i32 v8, v8, 0, 8
	s_delay_alu instid0(VALU_DEP_4) | instskip(NEXT) | instid1(VALU_DEP_4)
	v_bfe_i32 v9, v9, 0, 8
	v_max_i16 v6, v6, 0
	s_delay_alu instid0(VALU_DEP_4) | instskip(NEXT) | instid1(VALU_DEP_4)
	v_max_i16 v7, v7, 0
	v_max_i16 v8, v8, 0
	s_delay_alu instid0(VALU_DEP_4) | instskip(NEXT) | instid1(VALU_DEP_4)
	v_max_i16 v9, v9, 0
	v_and_b32_e32 v6, 0xffff, v6
	s_delay_alu instid0(VALU_DEP_4) | instskip(NEXT) | instid1(VALU_DEP_4)
	v_and_b32_e32 v7, 0xffff, v7
	v_and_b32_e32 v8, 0xffff, v8
	s_delay_alu instid0(VALU_DEP_4)
	v_and_b32_e32 v9, 0xffff, v9
	scratch_store_b128 off, v[6:9], off offset:240
	buffer_load_b32 v6, v15, s[24:27], 0 offen
	v_mad_u64_u32 v[15:16], null, s56, 61, v[14:15]
	s_waitcnt vmcnt(0)
	v_cndmask_b32_e64 v6, 0, v6, s1
	s_delay_alu instid0(VALU_DEP_1) | instskip(SKIP_3) | instid1(VALU_DEP_4)
	v_lshrrev_b32_e32 v7, 8, v6
	v_lshrrev_b32_e32 v8, 16, v6
	;; [unrolled: 1-line block ×3, first 2 shown]
	v_add_nc_u16 v6, v6, v10
	v_add_nc_u16 v7, v7, v11
	s_delay_alu instid0(VALU_DEP_4) | instskip(NEXT) | instid1(VALU_DEP_4)
	v_add_nc_u16 v8, v8, v12
	v_add_nc_u16 v9, v9, v13
	s_delay_alu instid0(VALU_DEP_4) | instskip(NEXT) | instid1(VALU_DEP_4)
	v_bfe_i32 v6, v6, 0, 8
	v_bfe_i32 v7, v7, 0, 8
	s_delay_alu instid0(VALU_DEP_4) | instskip(NEXT) | instid1(VALU_DEP_4)
	v_bfe_i32 v8, v8, 0, 8
	v_bfe_i32 v9, v9, 0, 8
	s_delay_alu instid0(VALU_DEP_4) | instskip(NEXT) | instid1(VALU_DEP_4)
	v_max_i16 v6, v6, 0
	v_max_i16 v7, v7, 0
	s_delay_alu instid0(VALU_DEP_4) | instskip(NEXT) | instid1(VALU_DEP_4)
	v_max_i16 v8, v8, 0
	v_max_i16 v9, v9, 0
	s_delay_alu instid0(VALU_DEP_4) | instskip(NEXT) | instid1(VALU_DEP_4)
	v_and_b32_e32 v6, 0xffff, v6
	v_and_b32_e32 v7, 0xffff, v7
	s_delay_alu instid0(VALU_DEP_4) | instskip(NEXT) | instid1(VALU_DEP_4)
	v_and_b32_e32 v8, 0xffff, v8
	v_and_b32_e32 v9, 0xffff, v9
	scratch_store_b128 off, v[6:9], off offset:256
	buffer_load_b32 v11, v15, s[24:27], 0 offen
	scratch_load_b128 v[7:10], off, off offset:272
	v_add_nc_u32_e32 v6, 64, v1
	s_delay_alu instid0(VALU_DEP_1) | instskip(SKIP_1) | instid1(VALU_DEP_2)
	v_cmp_gt_i32_e64 s1, s33, v6
	v_cmp_gt_i32_e64 s11, s16, v6
	s_and_b32 s2, s1, s0
	s_and_b32 s1, s1, vcc_lo
	s_waitcnt vmcnt(1)
	v_cndmask_b32_e64 v16, 0, v11, s2
	scratch_load_b128 v[11:14], off, off offset:288
	v_lshrrev_b32_e32 v17, 8, v16
	v_lshrrev_b32_e32 v18, 16, v16
	;; [unrolled: 1-line block ×3, first 2 shown]
	s_waitcnt vmcnt(1)
	v_add_nc_u16 v7, v16, v7
	v_add_nc_u32_e32 v16, s3, v15
	v_add_nc_u16 v8, v17, v8
	v_add_nc_u16 v9, v18, v9
	;; [unrolled: 1-line block ×3, first 2 shown]
	v_bfe_i32 v7, v7, 0, 8
	s_delay_alu instid0(VALU_DEP_4) | instskip(NEXT) | instid1(VALU_DEP_4)
	v_bfe_i32 v8, v8, 0, 8
	v_bfe_i32 v9, v9, 0, 8
	s_delay_alu instid0(VALU_DEP_4) | instskip(NEXT) | instid1(VALU_DEP_4)
	v_bfe_i32 v10, v10, 0, 8
	v_max_i16 v7, v7, 0
	s_delay_alu instid0(VALU_DEP_4) | instskip(NEXT) | instid1(VALU_DEP_4)
	v_max_i16 v8, v8, 0
	v_max_i16 v9, v9, 0
	s_delay_alu instid0(VALU_DEP_4) | instskip(NEXT) | instid1(VALU_DEP_4)
	v_max_i16 v10, v10, 0
	v_and_b32_e32 v7, 0xffff, v7
	s_delay_alu instid0(VALU_DEP_4) | instskip(NEXT) | instid1(VALU_DEP_4)
	v_and_b32_e32 v8, 0xffff, v8
	v_and_b32_e32 v9, 0xffff, v9
	s_delay_alu instid0(VALU_DEP_4)
	v_and_b32_e32 v10, 0xffff, v10
	scratch_store_b128 off, v[7:10], off offset:272
	buffer_load_b32 v7, v16, s[24:27], 0 offen
	v_add_nc_u32_e32 v16, s56, v15
	s_waitcnt vmcnt(0)
	v_cndmask_b32_e64 v7, 0, v7, s1
	s_delay_alu instid0(VALU_DEP_1) | instskip(SKIP_3) | instid1(VALU_DEP_4)
	v_lshrrev_b32_e32 v8, 8, v7
	v_lshrrev_b32_e32 v9, 16, v7
	;; [unrolled: 1-line block ×3, first 2 shown]
	v_add_nc_u16 v7, v7, v11
	v_add_nc_u16 v8, v8, v12
	s_delay_alu instid0(VALU_DEP_4) | instskip(NEXT) | instid1(VALU_DEP_4)
	v_add_nc_u16 v9, v9, v13
	v_add_nc_u16 v10, v10, v14
	s_delay_alu instid0(VALU_DEP_4) | instskip(NEXT) | instid1(VALU_DEP_4)
	v_bfe_i32 v7, v7, 0, 8
	v_bfe_i32 v8, v8, 0, 8
	s_delay_alu instid0(VALU_DEP_4) | instskip(NEXT) | instid1(VALU_DEP_4)
	v_bfe_i32 v9, v9, 0, 8
	v_bfe_i32 v10, v10, 0, 8
	s_delay_alu instid0(VALU_DEP_4) | instskip(NEXT) | instid1(VALU_DEP_4)
	v_max_i16 v7, v7, 0
	v_max_i16 v8, v8, 0
	s_delay_alu instid0(VALU_DEP_4) | instskip(NEXT) | instid1(VALU_DEP_4)
	v_max_i16 v9, v9, 0
	v_max_i16 v10, v10, 0
	s_delay_alu instid0(VALU_DEP_4) | instskip(NEXT) | instid1(VALU_DEP_4)
	v_and_b32_e32 v7, 0xffff, v7
	v_and_b32_e32 v8, 0xffff, v8
	s_delay_alu instid0(VALU_DEP_4) | instskip(NEXT) | instid1(VALU_DEP_4)
	v_and_b32_e32 v9, 0xffff, v9
	v_and_b32_e32 v10, 0xffff, v10
	scratch_store_b128 off, v[7:10], off offset:288
	buffer_load_b32 v12, v16, s[24:27], 0 offen
	scratch_load_b128 v[8:11], off, off offset:304
	v_add_nc_u32_e32 v7, 0x41, v1
	s_delay_alu instid0(VALU_DEP_1) | instskip(SKIP_2) | instid1(VALU_DEP_3)
	v_cmp_gt_i32_e64 s1, s33, v7
	v_cmp_gt_i32_e64 s9, s16, v7
	v_cmp_ge_i32_e64 s10, s16, v7
	s_and_b32 s2, s1, s0
	s_and_b32 s1, s1, vcc_lo
	s_waitcnt vmcnt(1)
	v_cndmask_b32_e64 v17, 0, v12, s2
	scratch_load_b128 v[12:15], off, off offset:320
	v_lshrrev_b32_e32 v18, 8, v17
	v_lshrrev_b32_e32 v19, 16, v17
	;; [unrolled: 1-line block ×3, first 2 shown]
	s_waitcnt vmcnt(1)
	v_add_nc_u16 v8, v17, v8
	v_add_nc_u32_e32 v17, s3, v16
	v_add_nc_u16 v9, v18, v9
	v_add_nc_u16 v10, v19, v10
	;; [unrolled: 1-line block ×3, first 2 shown]
	v_bfe_i32 v8, v8, 0, 8
	v_add_nc_u32_e32 v16, s56, v16
	v_bfe_i32 v9, v9, 0, 8
	v_bfe_i32 v10, v10, 0, 8
	;; [unrolled: 1-line block ×3, first 2 shown]
	v_max_i16 v8, v8, 0
	s_delay_alu instid0(VALU_DEP_4) | instskip(NEXT) | instid1(VALU_DEP_4)
	v_max_i16 v9, v9, 0
	v_max_i16 v10, v10, 0
	s_delay_alu instid0(VALU_DEP_4) | instskip(NEXT) | instid1(VALU_DEP_4)
	v_max_i16 v11, v11, 0
	v_and_b32_e32 v8, 0xffff, v8
	s_delay_alu instid0(VALU_DEP_4) | instskip(NEXT) | instid1(VALU_DEP_4)
	v_and_b32_e32 v9, 0xffff, v9
	v_and_b32_e32 v10, 0xffff, v10
	s_delay_alu instid0(VALU_DEP_4)
	v_and_b32_e32 v11, 0xffff, v11
	scratch_store_b128 off, v[8:11], off offset:304
	buffer_load_b32 v8, v17, s[24:27], 0 offen
	s_waitcnt vmcnt(0)
	v_cndmask_b32_e64 v8, 0, v8, s1
	v_cmp_gt_i32_e64 s1, s33, v72
	s_delay_alu instid0(VALU_DEP_2)
	v_lshrrev_b32_e32 v9, 8, v8
	v_lshrrev_b32_e32 v10, 16, v8
	;; [unrolled: 1-line block ×3, first 2 shown]
	v_add_nc_u16 v8, v8, v12
	s_and_b32 s2, s1, s0
	v_add_nc_u16 v9, v9, v13
	v_add_nc_u16 v10, v10, v14
	;; [unrolled: 1-line block ×3, first 2 shown]
	v_bfe_i32 v8, v8, 0, 8
	s_and_b32 s1, s1, vcc_lo
	v_bfe_i32 v9, v9, 0, 8
	v_bfe_i32 v10, v10, 0, 8
	;; [unrolled: 1-line block ×3, first 2 shown]
	v_max_i16 v8, v8, 0
	s_delay_alu instid0(VALU_DEP_4) | instskip(NEXT) | instid1(VALU_DEP_4)
	v_max_i16 v9, v9, 0
	v_max_i16 v10, v10, 0
	s_delay_alu instid0(VALU_DEP_4) | instskip(NEXT) | instid1(VALU_DEP_4)
	v_max_i16 v11, v11, 0
	v_and_b32_e32 v8, 0xffff, v8
	s_delay_alu instid0(VALU_DEP_4) | instskip(NEXT) | instid1(VALU_DEP_4)
	v_and_b32_e32 v9, 0xffff, v9
	v_and_b32_e32 v10, 0xffff, v10
	s_delay_alu instid0(VALU_DEP_4)
	v_and_b32_e32 v11, 0xffff, v11
	scratch_store_b128 off, v[8:11], off offset:320
	buffer_load_b32 v12, v16, s[24:27], 0 offen
	scratch_load_b128 v[8:11], off, off offset:336
	s_waitcnt vmcnt(1)
	v_cndmask_b32_e64 v17, 0, v12, s2
	scratch_load_b128 v[12:15], off, off offset:352
	v_cmp_gt_i32_e64 s2, s16, v3
	v_lshrrev_b32_e32 v18, 8, v17
	v_lshrrev_b32_e32 v19, 16, v17
	;; [unrolled: 1-line block ×3, first 2 shown]
	s_waitcnt vmcnt(1)
	v_add_nc_u16 v8, v17, v8
	v_add_nc_u32_e32 v17, s3, v16
	v_add_nc_u16 v9, v18, v9
	v_add_nc_u16 v10, v19, v10
	;; [unrolled: 1-line block ×3, first 2 shown]
	v_bfe_i32 v8, v8, 0, 8
	v_add_nc_u32_e32 v16, s56, v16
	v_bfe_i32 v9, v9, 0, 8
	v_bfe_i32 v10, v10, 0, 8
	;; [unrolled: 1-line block ×3, first 2 shown]
	v_max_i16 v8, v8, 0
	s_delay_alu instid0(VALU_DEP_4) | instskip(NEXT) | instid1(VALU_DEP_4)
	v_max_i16 v9, v9, 0
	v_max_i16 v10, v10, 0
	s_delay_alu instid0(VALU_DEP_4) | instskip(NEXT) | instid1(VALU_DEP_4)
	v_max_i16 v11, v11, 0
	v_and_b32_e32 v8, 0xffff, v8
	s_delay_alu instid0(VALU_DEP_4) | instskip(NEXT) | instid1(VALU_DEP_4)
	v_and_b32_e32 v9, 0xffff, v9
	v_and_b32_e32 v10, 0xffff, v10
	s_delay_alu instid0(VALU_DEP_4)
	v_and_b32_e32 v11, 0xffff, v11
	scratch_store_b128 off, v[8:11], off offset:336
	buffer_load_b32 v8, v17, s[24:27], 0 offen
	s_waitcnt vmcnt(0)
	v_cndmask_b32_e64 v8, 0, v8, s1
	v_cmp_gt_i32_e64 s1, s33, v73
	s_delay_alu instid0(VALU_DEP_2)
	v_lshrrev_b32_e32 v9, 8, v8
	v_lshrrev_b32_e32 v10, 16, v8
	v_lshrrev_b32_e32 v11, 24, v8
	v_add_nc_u16 v8, v8, v12
	s_and_b32 s0, s1, s0
	v_add_nc_u16 v9, v9, v13
	v_add_nc_u16 v10, v10, v14
	;; [unrolled: 1-line block ×3, first 2 shown]
	v_bfe_i32 v8, v8, 0, 8
	s_and_b32 vcc_lo, s1, vcc_lo
	v_bfe_i32 v9, v9, 0, 8
	v_bfe_i32 v10, v10, 0, 8
	;; [unrolled: 1-line block ×3, first 2 shown]
	v_max_i16 v8, v8, 0
	s_delay_alu instid0(VALU_DEP_4) | instskip(NEXT) | instid1(VALU_DEP_4)
	v_max_i16 v9, v9, 0
	v_max_i16 v10, v10, 0
	s_delay_alu instid0(VALU_DEP_4) | instskip(NEXT) | instid1(VALU_DEP_4)
	v_max_i16 v11, v11, 0
	v_and_b32_e32 v8, 0xffff, v8
	s_delay_alu instid0(VALU_DEP_4) | instskip(NEXT) | instid1(VALU_DEP_4)
	v_and_b32_e32 v9, 0xffff, v9
	v_and_b32_e32 v10, 0xffff, v10
	s_delay_alu instid0(VALU_DEP_4)
	v_and_b32_e32 v11, 0xffff, v11
	scratch_store_b128 off, v[8:11], off offset:352
	buffer_load_b32 v12, v16, s[24:27], 0 offen
	scratch_load_b128 v[8:11], off, off offset:368
	v_add_nc_u32_e32 v16, s3, v16
	v_cmp_gt_i32_e64 s3, s16, v4
	s_waitcnt vmcnt(1)
	v_cndmask_b32_e64 v17, 0, v12, s0
	scratch_load_b128 v[12:15], off, off offset:384
	v_cmp_gt_i32_e64 s0, s16, v1
	v_mul_lo_u32 v1, v1, s34
	v_lshrrev_b32_e32 v18, 8, v17
	v_lshrrev_b32_e32 v19, 16, v17
	;; [unrolled: 1-line block ×3, first 2 shown]
	s_waitcnt vmcnt(1)
	v_add_nc_u16 v8, v17, v8
	v_add_nc_u16 v9, v18, v9
	;; [unrolled: 1-line block ×4, first 2 shown]
	s_delay_alu instid0(VALU_DEP_4) | instskip(NEXT) | instid1(VALU_DEP_4)
	v_bfe_i32 v8, v8, 0, 8
	v_bfe_i32 v9, v9, 0, 8
	s_delay_alu instid0(VALU_DEP_4) | instskip(NEXT) | instid1(VALU_DEP_4)
	v_bfe_i32 v10, v10, 0, 8
	v_bfe_i32 v11, v11, 0, 8
	s_delay_alu instid0(VALU_DEP_4) | instskip(NEXT) | instid1(VALU_DEP_4)
	v_max_i16 v8, v8, 0
	v_max_i16 v9, v9, 0
	s_delay_alu instid0(VALU_DEP_4) | instskip(NEXT) | instid1(VALU_DEP_4)
	v_max_i16 v10, v10, 0
	v_max_i16 v11, v11, 0
	s_delay_alu instid0(VALU_DEP_4) | instskip(NEXT) | instid1(VALU_DEP_4)
	v_and_b32_e32 v8, 0xffff, v8
	v_and_b32_e32 v9, 0xffff, v9
	s_delay_alu instid0(VALU_DEP_4) | instskip(NEXT) | instid1(VALU_DEP_4)
	v_and_b32_e32 v10, 0xffff, v10
	v_and_b32_e32 v11, 0xffff, v11
	scratch_store_b128 off, v[8:11], off offset:368
	buffer_load_b32 v52, v16, s[24:27], 0 offen
	s_clause 0x9
	scratch_load_b128 v[8:11], off, off offset:144
	scratch_load_b128 v[16:19], off, off offset:160
	;; [unrolled: 1-line block ×10, first 2 shown]
	s_waitcnt vmcnt(9)
	v_lshlrev_b32_e32 v9, 8, v9
	v_lshlrev_b32_e32 v10, 16, v10
	s_waitcnt vmcnt(8)
	v_lshlrev_b32_e32 v17, 8, v17
	v_lshlrev_b32_e32 v18, 16, v18
	;; [unrolled: 1-line block ×3, first 2 shown]
	v_perm_b32 v8, v9, v8, 0xc0c0500
	v_and_b32_e32 v9, 0xff0000, v10
	v_lshlrev_b32_e32 v10, 24, v19
	v_cndmask_b32_e32 v60, 0, v52, vcc_lo
	s_clause 0x1
	scratch_load_b128 v[52:55], off, off offset:304
	scratch_load_b128 v[56:59], off, off offset:320
	v_cmp_gt_i32_e32 vcc_lo, s19, v0
	v_perm_b32 v16, v17, v16, 0xc0c0500
	v_and_b32_e32 v17, 0xff0000, v18
	v_lshrrev_b32_e32 v61, 8, v60
	v_lshrrev_b32_e32 v62, 16, v60
	;; [unrolled: 1-line block ×3, first 2 shown]
	v_add_nc_u16 v64, v60, v12
	s_and_b32 s1, s0, vcc_lo
	v_add_nc_u16 v65, v61, v13
	v_add_nc_u16 v66, v62, v14
	;; [unrolled: 1-line block ×3, first 2 shown]
	v_bfe_i32 v64, v64, 0, 8
	s_clause 0x1
	scratch_load_b128 v[12:15], off, off offset:352
	scratch_load_b128 v[60:63], off, off offset:336
	v_bfe_i32 v65, v65, 0, 8
	v_bfe_i32 v66, v66, 0, 8
	v_bfe_i32 v67, v67, 0, 8
	v_max_i16 v64, v64, 0
	scratch_load_b128 v[68:71], off, off offset:368
	v_max_i16 v65, v65, 0
	v_max_i16 v66, v66, 0
	;; [unrolled: 1-line block ×3, first 2 shown]
	v_and_b32_e32 v64, 0xffff, v64
	v_cndmask_b32_e64 v74, 0x80000000, 0, s1
	v_and_b32_e32 v65, 0xffff, v65
	v_and_b32_e32 v66, 0xffff, v66
	;; [unrolled: 1-line block ×3, first 2 shown]
	v_cmp_gt_i32_e64 s1, s19, v2
	v_mad_u64_u32 v[2:3], null, v0, s35, v[1:2]
	v_or3_b32 v8, v8, v9, v11
	scratch_store_b128 off, v[64:67], off offset:384
	scratch_load_b128 v[64:67], off, off offset:384
	v_or3_b32 v9, v16, v17, v10
	s_waitcnt vmcnt(13)
	v_lshlrev_b32_e32 v10, 8, v21
	v_lshlrev_b32_e32 v16, 24, v23
	v_add_nc_u32_e32 v3, s17, v2
	s_waitcnt vmcnt(12)
	v_lshlrev_b32_e32 v17, 8, v25
	v_lshlrev_b32_e32 v21, 16, v26
	v_perm_b32 v10, v10, v20, 0xc0c0500
	s_waitcnt vmcnt(11)
	v_lshlrev_b32_e32 v20, 8, v29
	v_add_nc_u32_e32 v6, s34, v3
	v_lshlrev_b32_e32 v23, 16, v30
	s_and_b32 s0, s0, s1
	v_lshlrev_b32_e32 v11, 16, v22
	v_cndmask_b32_e64 v0, 0x80000000, 0, s0
	v_add_nc_u32_e32 v73, s34, v6
	s_and_b32 s0, s2, s1
	v_lshlrev_b32_e32 v22, 24, v27
	v_perm_b32 v17, v17, v24, 0xc0c0500
	v_and_b32_e32 v21, 0xff0000, v21
	v_add_nc_u32_e32 v77, s34, v73
	v_lshlrev_b32_e32 v24, 24, v31
	v_perm_b32 v20, v20, v28, 0xc0c0500
	v_and_b32_e32 v23, 0xff0000, v23
	v_cndmask_b32_e64 v1, 0x80000000, 0, s0
	v_subrev_nc_u32_e32 v80, s17, v77
	s_and_b32 s0, s2, vcc_lo
	v_and_b32_e32 v11, 0xff0000, v11
	v_cndmask_b32_e64 v4, 0x80000000, 0, s0
	s_and_b32 s0, s3, vcc_lo
	v_lshl_add_u32 v83, s20, 6, v80
	v_cndmask_b32_e64 v5, 0x80000000, 0, s0
	s_and_b32 s0, s3, s1
	v_or3_b32 v17, v17, v21, v22
	v_or3_b32 v20, v20, v23, v24
	s_waitcnt vmcnt(9)
	v_lshlrev_b32_e32 v22, 8, v37
	v_lshlrev_b32_e32 v23, 16, v38
	v_cndmask_b32_e64 v7, 0x80000000, 0, s0
	s_and_b32 s0, s4, s1
	v_or3_b32 v10, v10, v11, v16
	v_cndmask_b32_e64 v72, 0x80000000, 0, s0
	s_and_b32 s0, s4, vcc_lo
	v_lshlrev_b32_e32 v11, 8, v33
	v_subrev_nc_u32_e32 v86, s34, v83
	v_lshlrev_b32_e32 v16, 16, v34
	v_lshlrev_b32_e32 v24, 24, v39
	v_perm_b32 v22, v22, v36, 0xc0c0500
	v_and_b32_e32 v23, 0xff0000, v23
	v_cndmask_b32_e64 v75, 0x80000000, 0, s0
	s_and_b32 s0, s5, vcc_lo
	v_perm_b32 v11, v11, v32, 0xc0c0500
	v_cndmask_b32_e64 v76, 0x80000000, 0, s0
	s_and_b32 s0, s5, s1
	v_add_nc_u32_e32 v88, s34, v2
	v_cndmask_b32_e64 v78, 0x80000000, 0, s0
	s_and_b32 s0, s6, s1
	v_add_nc_u32_e32 v2, v74, v2
	v_subrev_nc_u32_e32 v74, s17, v86
	v_lshlrev_b32_e32 v21, 24, v35
	v_and_b32_e32 v16, 0xff0000, v16
	s_waitcnt vmcnt(8)
	v_lshlrev_b32_e32 v25, 8, v41
	v_lshlrev_b32_e32 v26, 16, v42
	v_or3_b32 v22, v22, v23, v24
	s_waitcnt vmcnt(7)
	v_lshlrev_b32_e32 v23, 8, v45
	v_lshlrev_b32_e32 v24, 16, v46
	v_cndmask_b32_e64 v79, 0x80000000, 0, s0
	s_and_b32 s0, s7, vcc_lo
	v_add_nc_u32_e32 v0, v0, v3
	v_cndmask_b32_e64 v81, 0x80000000, 0, s0
	s_and_b32 s0, s8, vcc_lo
	v_add_nc_u32_e32 v3, v88, v4
	v_add3_u32 v4, v5, s34, v88
	v_subrev_nc_u32_e32 v5, s34, v74
	v_or3_b32 v11, v11, v16, v21
	v_perm_b32 v21, v25, v40, 0xc0c0500
	v_and_b32_e32 v25, 0xff0000, v26
	v_lshlrev_b32_e32 v26, 24, v47
	v_perm_b32 v23, v23, v44, 0xc0c0500
	v_and_b32_e32 v24, 0xff0000, v24
	v_cndmask_b32_e64 v82, 0x80000000, 0, s0
	s_and_b32 s0, s9, s1
	s_clause 0x1
	buffer_store_b32 v8, v2, s[12:15], 0 offen
	buffer_store_b32 v9, v0, s[12:15], 0 offen
	v_cndmask_b32_e64 v84, 0x80000000, 0, s0
	s_and_b32 s0, s11, vcc_lo
	v_add_nc_u32_e32 v1, v1, v6
	v_cndmask_b32_e64 v85, 0x80000000, 0, s0
	v_add_nc_u32_e32 v6, v73, v7
	v_add_nc_u32_e32 v7, v77, v72
	;; [unrolled: 1-line block ×4, first 2 shown]
	v_lshlrev_b32_e32 v16, 24, v43
	s_waitcnt vmcnt(6)
	v_lshlrev_b32_e32 v27, 8, v49
	v_lshlrev_b32_e32 v28, 16, v50
	v_or3_b32 v23, v23, v24, v26
	s_and_b32 s0, s10, s1
	v_subrev_nc_u32_e32 v85, s17, v85
	v_cndmask_b32_e64 v87, 0x80000000, 0, s0
	v_add3_u32 v73, v76, s18, v80
	v_add_nc_u32_e32 v76, v83, v78
	v_subrev_nc_u32_e32 v78, s34, v75
	v_or3_b32 v16, v21, v25, v16
	v_lshlrev_b32_e32 v21, 24, v51
	v_perm_b32 v25, v27, v48, 0xc0c0500
	v_and_b32_e32 v27, 0xff0000, v28
	s_clause 0x2
	buffer_store_b32 v10, v1, s[12:15], 0 offen
	buffer_store_b32 v17, v3, s[12:15], 0 offen
	;; [unrolled: 1-line block ×3, first 2 shown]
	v_add_nc_u32_e32 v77, v86, v79
	v_add_nc_u32_e32 v74, v74, v81
	;; [unrolled: 1-line block ×6, first 2 shown]
	v_or3_b32 v21, v25, v27, v21
	s_waitcnt vmcnt(5)
	v_lshlrev_b32_e32 v24, 8, v53
	v_lshlrev_b32_e32 v26, 16, v54
	s_waitcnt vmcnt(4)
	v_lshlrev_b32_e32 v29, 8, v57
	v_lshlrev_b32_e32 v30, 16, v58
	;; [unrolled: 1-line block ×3, first 2 shown]
	v_perm_b32 v24, v24, v52, 0xc0c0500
	v_and_b32_e32 v26, 0xff0000, v26
	v_lshlrev_b32_e32 v31, 24, v59
	v_perm_b32 v29, v29, v56, 0xc0c0500
	v_and_b32_e32 v30, 0xff0000, v30
	s_delay_alu instid0(VALU_DEP_4)
	v_or3_b32 v24, v24, v26, v28
	s_waitcnt vmcnt(3)
	v_lshlrev_b32_e32 v13, 8, v13
	v_lshlrev_b32_e32 v14, 16, v14
	s_waitcnt vmcnt(2)
	v_lshlrev_b32_e32 v32, 8, v61
	v_lshlrev_b32_e32 v33, 16, v62
	;; [unrolled: 1-line block ×4, first 2 shown]
	v_perm_b32 v12, v13, v12, 0xc0c0500
	v_and_b32_e32 v13, 0xff0000, v14
	v_perm_b32 v14, v32, v60, 0xc0c0500
	v_and_b32_e32 v32, 0xff0000, v33
	s_waitcnt vmcnt(1)
	v_lshlrev_b32_e32 v0, 8, v69
	v_lshlrev_b32_e32 v2, 16, v70
	v_or3_b32 v12, v12, v13, v15
	v_lshlrev_b32_e32 v8, 24, v71
	v_or3_b32 v13, v14, v32, v34
	v_perm_b32 v0, v0, v68, 0xc0c0500
	v_and_b32_e32 v2, 0xff0000, v2
	v_or3_b32 v25, v29, v30, v31
	s_waitcnt vmcnt(0)
	v_lshlrev_b32_e32 v9, 8, v65
	v_lshlrev_b32_e32 v14, 16, v66
	;; [unrolled: 1-line block ×3, first 2 shown]
	v_or3_b32 v0, v0, v2, v8
	s_delay_alu instid0(VALU_DEP_4) | instskip(NEXT) | instid1(VALU_DEP_4)
	v_perm_b32 v9, v9, v64, 0xc0c0500
	v_and_b32_e32 v14, 0xff0000, v14
	s_delay_alu instid0(VALU_DEP_1)
	v_or3_b32 v1, v9, v14, v15
	s_clause 0xa
	buffer_store_b32 v11, v6, s[12:15], 0 offen
	buffer_store_b32 v22, v7, s[12:15], 0 offen
	;; [unrolled: 1-line block ×11, first 2 shown]
	s_endpgm
	.section	.rodata,"a",@progbits
	.p2align	6, 0x0
	.amdhsa_kernel _ZN2ck16tensor_operation6device12_GLOBAL__N_137kernel_grouped_conv_fwd_dl_multiple_dINS_32GridwiseGemmDlMultipleD_km_kn_mnILi256EaiNS_5TupleIJaEEEaNS0_12element_wise11PassThroughES8_NS7_7AddReluELNS_25InMemoryDataOperationEnumE0ENS_16TensorDescriptorINS5_IJNS_5EmbedINS5_IJiiiEEESD_Lb0EEENS_11PassThroughIiEENS_3PadIiiiLb0EEESG_SG_NSC_INS5_IJiiEEESJ_Lb0EEESG_NS_23Merge_v2_magic_divisionISJ_EESM_NS_8RightPadIiiLb0EEESO_NS_7UnMergeISJ_Lb0EEESG_EEENS5_IJNS_8SequenceIJLi0EEEENSS_IJLi1EEEENSS_IJLi2EEEENSS_IJLi3EEEENSS_IJLi4EEEENSS_IJLi5EEEENSS_IJLi6EEEENSS_IJLi7ELi9EEEENSS_IJLi8ELi10EEEENSS_IJLi11EEEENSS_IJLi12EEEENSS_IJLi14EEEENSS_IJLi13EEEEEEENS5_IJNSS_IJLi1ELi2ELi3EEEESX_SY_SZ_NSS_IJLi7EEEENSS_IJLi8ELi9EEEENSS_IJLi10EEEES12_S13_S15_S14_NSS_IJLi15ELi16EEEENSS_IJLi17EEEEEEENSS_IJLi15ELi17ELi16EEEElEENSB_INS5_IJSQ_SO_SO_SQ_SG_EEENS5_IJST_SU_SV_SX_SW_EEENS5_IJNSS_IJLi1ELi2EEEESW_SX_NSS_IJLi5ELi6EEEES18_EEENSS_IJLi5ELi7ELi6EEEElEENSB_INS5_IJSK_SO_SO_EEENS5_IJST_SU_SV_EEENS5_IJS1I_SW_SX_EEENSS_IJLi3ELi4EEEElEELi128ELi128ELi16ELi4ELi4ELi4ELi1ENSS_IJLi8ELi2EEEES1S_NSS_IJLi8ELi1ELi1ELi4EEEENSS_IJLi2ELi1ELi128ELi1EEEENSS_IJLi1ELi2ELi0ELi3EEEES1V_NSS_IJLi4ELi1ELi1ELi4EEEES1V_NSS_IJLi1ELi1ELi1ELi4EEEES1T_S1U_S1V_S1V_S1W_S1V_S1X_NSS_IJLi0ELi1ELi2ELi3ELi4ELi5EEEELi5ELi4EEEaNS5_IJPKaEEEaS8_S8_S9_NSB_INS5_IJSE_SG_SI_SG_SG_SK_SG_SM_SM_SO_SO_SQ_SG_SG_NSP_INS5_IJiNS_17integral_constantIiLi128EEEEEELb0EEENSF_INS23_IiLi4EEEEEEEENS5_IJST_SU_SV_SW_SX_SY_SZ_S10_S11_S12_S13_S14_S15_NSS_IJLi15EEEES1C_NSS_IJLi16EEEEEEENS5_IJS17_SX_SY_SZ_S18_S19_S1A_S12_S13_S15_S14_S1B_S1C_NSS_IJLi18EEEENSS_IJLi19ELi20EEEENSS_IJLi21EEEEEEENSS_IJLi18ELi19ELi20ELi21EEEElEENSB_INS5_IJSQ_SO_SO_SQ_SG_SG_S26_S28_EEENS5_IJST_SU_SV_SX_SW_SY_S18_SZ_EEENS5_IJS1I_SW_SX_S1J_S18_NSS_IJLi8EEEENSS_IJLi9ELi10EEEES12_EEENSS_IJLi8ELi9ELi10ELi11EEEElEENS5_IJNSB_INS5_IJSK_SO_SO_NSP_INS5_IJiNS23_IiLi2EEENS23_IiLi64EEEEEELb0EEES2T_EEENS5_IJST_SU_SV_SW_SX_EEENS5_IJS1I_SW_SX_NSS_IJLi5ELi6ELi7EEEENSS_IJLi8ELi9ELi10EEEEEEENSS_IJLi5ELi6ELi7ELi8ELi9ELi10EEEElEEEEES30_NS_31BlockToCTileMap_M00_N00_M01_N01ILi128ELi128ES1R_Lb0EEENS1_30ComputePtrOffsetOfStridedBatchILi1ELi1ELi1EvEELb1ELb1EEEvPKT0_S38_T1_PT2_T3_T4_T5_iT6_T7_T8_T9_T10_T11_
		.amdhsa_group_segment_fixed_size 32768
		.amdhsa_private_segment_fixed_size 480
		.amdhsa_kernarg_size 904
		.amdhsa_user_sgpr_count 15
		.amdhsa_user_sgpr_dispatch_ptr 0
		.amdhsa_user_sgpr_queue_ptr 0
		.amdhsa_user_sgpr_kernarg_segment_ptr 1
		.amdhsa_user_sgpr_dispatch_id 0
		.amdhsa_user_sgpr_private_segment_size 0
		.amdhsa_wavefront_size32 1
		.amdhsa_uses_dynamic_stack 0
		.amdhsa_enable_private_segment 1
		.amdhsa_system_sgpr_workgroup_id_x 1
		.amdhsa_system_sgpr_workgroup_id_y 0
		.amdhsa_system_sgpr_workgroup_id_z 0
		.amdhsa_system_sgpr_workgroup_info 0
		.amdhsa_system_vgpr_workitem_id 0
		.amdhsa_next_free_vgpr 114
		.amdhsa_next_free_sgpr 81
		.amdhsa_reserve_vcc 1
		.amdhsa_float_round_mode_32 0
		.amdhsa_float_round_mode_16_64 0
		.amdhsa_float_denorm_mode_32 3
		.amdhsa_float_denorm_mode_16_64 3
		.amdhsa_dx10_clamp 1
		.amdhsa_ieee_mode 1
		.amdhsa_fp16_overflow 0
		.amdhsa_workgroup_processor_mode 1
		.amdhsa_memory_ordered 1
		.amdhsa_forward_progress 0
		.amdhsa_shared_vgpr_count 0
		.amdhsa_exception_fp_ieee_invalid_op 0
		.amdhsa_exception_fp_denorm_src 0
		.amdhsa_exception_fp_ieee_div_zero 0
		.amdhsa_exception_fp_ieee_overflow 0
		.amdhsa_exception_fp_ieee_underflow 0
		.amdhsa_exception_fp_ieee_inexact 0
		.amdhsa_exception_int_div_zero 0
	.end_amdhsa_kernel
	.section	.text._ZN2ck16tensor_operation6device12_GLOBAL__N_137kernel_grouped_conv_fwd_dl_multiple_dINS_32GridwiseGemmDlMultipleD_km_kn_mnILi256EaiNS_5TupleIJaEEEaNS0_12element_wise11PassThroughES8_NS7_7AddReluELNS_25InMemoryDataOperationEnumE0ENS_16TensorDescriptorINS5_IJNS_5EmbedINS5_IJiiiEEESD_Lb0EEENS_11PassThroughIiEENS_3PadIiiiLb0EEESG_SG_NSC_INS5_IJiiEEESJ_Lb0EEESG_NS_23Merge_v2_magic_divisionISJ_EESM_NS_8RightPadIiiLb0EEESO_NS_7UnMergeISJ_Lb0EEESG_EEENS5_IJNS_8SequenceIJLi0EEEENSS_IJLi1EEEENSS_IJLi2EEEENSS_IJLi3EEEENSS_IJLi4EEEENSS_IJLi5EEEENSS_IJLi6EEEENSS_IJLi7ELi9EEEENSS_IJLi8ELi10EEEENSS_IJLi11EEEENSS_IJLi12EEEENSS_IJLi14EEEENSS_IJLi13EEEEEEENS5_IJNSS_IJLi1ELi2ELi3EEEESX_SY_SZ_NSS_IJLi7EEEENSS_IJLi8ELi9EEEENSS_IJLi10EEEES12_S13_S15_S14_NSS_IJLi15ELi16EEEENSS_IJLi17EEEEEEENSS_IJLi15ELi17ELi16EEEElEENSB_INS5_IJSQ_SO_SO_SQ_SG_EEENS5_IJST_SU_SV_SX_SW_EEENS5_IJNSS_IJLi1ELi2EEEESW_SX_NSS_IJLi5ELi6EEEES18_EEENSS_IJLi5ELi7ELi6EEEElEENSB_INS5_IJSK_SO_SO_EEENS5_IJST_SU_SV_EEENS5_IJS1I_SW_SX_EEENSS_IJLi3ELi4EEEElEELi128ELi128ELi16ELi4ELi4ELi4ELi1ENSS_IJLi8ELi2EEEES1S_NSS_IJLi8ELi1ELi1ELi4EEEENSS_IJLi2ELi1ELi128ELi1EEEENSS_IJLi1ELi2ELi0ELi3EEEES1V_NSS_IJLi4ELi1ELi1ELi4EEEES1V_NSS_IJLi1ELi1ELi1ELi4EEEES1T_S1U_S1V_S1V_S1W_S1V_S1X_NSS_IJLi0ELi1ELi2ELi3ELi4ELi5EEEELi5ELi4EEEaNS5_IJPKaEEEaS8_S8_S9_NSB_INS5_IJSE_SG_SI_SG_SG_SK_SG_SM_SM_SO_SO_SQ_SG_SG_NSP_INS5_IJiNS_17integral_constantIiLi128EEEEEELb0EEENSF_INS23_IiLi4EEEEEEEENS5_IJST_SU_SV_SW_SX_SY_SZ_S10_S11_S12_S13_S14_S15_NSS_IJLi15EEEES1C_NSS_IJLi16EEEEEEENS5_IJS17_SX_SY_SZ_S18_S19_S1A_S12_S13_S15_S14_S1B_S1C_NSS_IJLi18EEEENSS_IJLi19ELi20EEEENSS_IJLi21EEEEEEENSS_IJLi18ELi19ELi20ELi21EEEElEENSB_INS5_IJSQ_SO_SO_SQ_SG_SG_S26_S28_EEENS5_IJST_SU_SV_SX_SW_SY_S18_SZ_EEENS5_IJS1I_SW_SX_S1J_S18_NSS_IJLi8EEEENSS_IJLi9ELi10EEEES12_EEENSS_IJLi8ELi9ELi10ELi11EEEElEENS5_IJNSB_INS5_IJSK_SO_SO_NSP_INS5_IJiNS23_IiLi2EEENS23_IiLi64EEEEEELb0EEES2T_EEENS5_IJST_SU_SV_SW_SX_EEENS5_IJS1I_SW_SX_NSS_IJLi5ELi6ELi7EEEENSS_IJLi8ELi9ELi10EEEEEEENSS_IJLi5ELi6ELi7ELi8ELi9ELi10EEEElEEEEES30_NS_31BlockToCTileMap_M00_N00_M01_N01ILi128ELi128ES1R_Lb0EEENS1_30ComputePtrOffsetOfStridedBatchILi1ELi1ELi1EvEELb1ELb1EEEvPKT0_S38_T1_PT2_T3_T4_T5_iT6_T7_T8_T9_T10_T11_,"axG",@progbits,_ZN2ck16tensor_operation6device12_GLOBAL__N_137kernel_grouped_conv_fwd_dl_multiple_dINS_32GridwiseGemmDlMultipleD_km_kn_mnILi256EaiNS_5TupleIJaEEEaNS0_12element_wise11PassThroughES8_NS7_7AddReluELNS_25InMemoryDataOperationEnumE0ENS_16TensorDescriptorINS5_IJNS_5EmbedINS5_IJiiiEEESD_Lb0EEENS_11PassThroughIiEENS_3PadIiiiLb0EEESG_SG_NSC_INS5_IJiiEEESJ_Lb0EEESG_NS_23Merge_v2_magic_divisionISJ_EESM_NS_8RightPadIiiLb0EEESO_NS_7UnMergeISJ_Lb0EEESG_EEENS5_IJNS_8SequenceIJLi0EEEENSS_IJLi1EEEENSS_IJLi2EEEENSS_IJLi3EEEENSS_IJLi4EEEENSS_IJLi5EEEENSS_IJLi6EEEENSS_IJLi7ELi9EEEENSS_IJLi8ELi10EEEENSS_IJLi11EEEENSS_IJLi12EEEENSS_IJLi14EEEENSS_IJLi13EEEEEEENS5_IJNSS_IJLi1ELi2ELi3EEEESX_SY_SZ_NSS_IJLi7EEEENSS_IJLi8ELi9EEEENSS_IJLi10EEEES12_S13_S15_S14_NSS_IJLi15ELi16EEEENSS_IJLi17EEEEEEENSS_IJLi15ELi17ELi16EEEElEENSB_INS5_IJSQ_SO_SO_SQ_SG_EEENS5_IJST_SU_SV_SX_SW_EEENS5_IJNSS_IJLi1ELi2EEEESW_SX_NSS_IJLi5ELi6EEEES18_EEENSS_IJLi5ELi7ELi6EEEElEENSB_INS5_IJSK_SO_SO_EEENS5_IJST_SU_SV_EEENS5_IJS1I_SW_SX_EEENSS_IJLi3ELi4EEEElEELi128ELi128ELi16ELi4ELi4ELi4ELi1ENSS_IJLi8ELi2EEEES1S_NSS_IJLi8ELi1ELi1ELi4EEEENSS_IJLi2ELi1ELi128ELi1EEEENSS_IJLi1ELi2ELi0ELi3EEEES1V_NSS_IJLi4ELi1ELi1ELi4EEEES1V_NSS_IJLi1ELi1ELi1ELi4EEEES1T_S1U_S1V_S1V_S1W_S1V_S1X_NSS_IJLi0ELi1ELi2ELi3ELi4ELi5EEEELi5ELi4EEEaNS5_IJPKaEEEaS8_S8_S9_NSB_INS5_IJSE_SG_SI_SG_SG_SK_SG_SM_SM_SO_SO_SQ_SG_SG_NSP_INS5_IJiNS_17integral_constantIiLi128EEEEEELb0EEENSF_INS23_IiLi4EEEEEEEENS5_IJST_SU_SV_SW_SX_SY_SZ_S10_S11_S12_S13_S14_S15_NSS_IJLi15EEEES1C_NSS_IJLi16EEEEEEENS5_IJS17_SX_SY_SZ_S18_S19_S1A_S12_S13_S15_S14_S1B_S1C_NSS_IJLi18EEEENSS_IJLi19ELi20EEEENSS_IJLi21EEEEEEENSS_IJLi18ELi19ELi20ELi21EEEElEENSB_INS5_IJSQ_SO_SO_SQ_SG_SG_S26_S28_EEENS5_IJST_SU_SV_SX_SW_SY_S18_SZ_EEENS5_IJS1I_SW_SX_S1J_S18_NSS_IJLi8EEEENSS_IJLi9ELi10EEEES12_EEENSS_IJLi8ELi9ELi10ELi11EEEElEENS5_IJNSB_INS5_IJSK_SO_SO_NSP_INS5_IJiNS23_IiLi2EEENS23_IiLi64EEEEEELb0EEES2T_EEENS5_IJST_SU_SV_SW_SX_EEENS5_IJS1I_SW_SX_NSS_IJLi5ELi6ELi7EEEENSS_IJLi8ELi9ELi10EEEEEEENSS_IJLi5ELi6ELi7ELi8ELi9ELi10EEEElEEEEES30_NS_31BlockToCTileMap_M00_N00_M01_N01ILi128ELi128ES1R_Lb0EEENS1_30ComputePtrOffsetOfStridedBatchILi1ELi1ELi1EvEELb1ELb1EEEvPKT0_S38_T1_PT2_T3_T4_T5_iT6_T7_T8_T9_T10_T11_,comdat
.Lfunc_end2:
	.size	_ZN2ck16tensor_operation6device12_GLOBAL__N_137kernel_grouped_conv_fwd_dl_multiple_dINS_32GridwiseGemmDlMultipleD_km_kn_mnILi256EaiNS_5TupleIJaEEEaNS0_12element_wise11PassThroughES8_NS7_7AddReluELNS_25InMemoryDataOperationEnumE0ENS_16TensorDescriptorINS5_IJNS_5EmbedINS5_IJiiiEEESD_Lb0EEENS_11PassThroughIiEENS_3PadIiiiLb0EEESG_SG_NSC_INS5_IJiiEEESJ_Lb0EEESG_NS_23Merge_v2_magic_divisionISJ_EESM_NS_8RightPadIiiLb0EEESO_NS_7UnMergeISJ_Lb0EEESG_EEENS5_IJNS_8SequenceIJLi0EEEENSS_IJLi1EEEENSS_IJLi2EEEENSS_IJLi3EEEENSS_IJLi4EEEENSS_IJLi5EEEENSS_IJLi6EEEENSS_IJLi7ELi9EEEENSS_IJLi8ELi10EEEENSS_IJLi11EEEENSS_IJLi12EEEENSS_IJLi14EEEENSS_IJLi13EEEEEEENS5_IJNSS_IJLi1ELi2ELi3EEEESX_SY_SZ_NSS_IJLi7EEEENSS_IJLi8ELi9EEEENSS_IJLi10EEEES12_S13_S15_S14_NSS_IJLi15ELi16EEEENSS_IJLi17EEEEEEENSS_IJLi15ELi17ELi16EEEElEENSB_INS5_IJSQ_SO_SO_SQ_SG_EEENS5_IJST_SU_SV_SX_SW_EEENS5_IJNSS_IJLi1ELi2EEEESW_SX_NSS_IJLi5ELi6EEEES18_EEENSS_IJLi5ELi7ELi6EEEElEENSB_INS5_IJSK_SO_SO_EEENS5_IJST_SU_SV_EEENS5_IJS1I_SW_SX_EEENSS_IJLi3ELi4EEEElEELi128ELi128ELi16ELi4ELi4ELi4ELi1ENSS_IJLi8ELi2EEEES1S_NSS_IJLi8ELi1ELi1ELi4EEEENSS_IJLi2ELi1ELi128ELi1EEEENSS_IJLi1ELi2ELi0ELi3EEEES1V_NSS_IJLi4ELi1ELi1ELi4EEEES1V_NSS_IJLi1ELi1ELi1ELi4EEEES1T_S1U_S1V_S1V_S1W_S1V_S1X_NSS_IJLi0ELi1ELi2ELi3ELi4ELi5EEEELi5ELi4EEEaNS5_IJPKaEEEaS8_S8_S9_NSB_INS5_IJSE_SG_SI_SG_SG_SK_SG_SM_SM_SO_SO_SQ_SG_SG_NSP_INS5_IJiNS_17integral_constantIiLi128EEEEEELb0EEENSF_INS23_IiLi4EEEEEEEENS5_IJST_SU_SV_SW_SX_SY_SZ_S10_S11_S12_S13_S14_S15_NSS_IJLi15EEEES1C_NSS_IJLi16EEEEEEENS5_IJS17_SX_SY_SZ_S18_S19_S1A_S12_S13_S15_S14_S1B_S1C_NSS_IJLi18EEEENSS_IJLi19ELi20EEEENSS_IJLi21EEEEEEENSS_IJLi18ELi19ELi20ELi21EEEElEENSB_INS5_IJSQ_SO_SO_SQ_SG_SG_S26_S28_EEENS5_IJST_SU_SV_SX_SW_SY_S18_SZ_EEENS5_IJS1I_SW_SX_S1J_S18_NSS_IJLi8EEEENSS_IJLi9ELi10EEEES12_EEENSS_IJLi8ELi9ELi10ELi11EEEElEENS5_IJNSB_INS5_IJSK_SO_SO_NSP_INS5_IJiNS23_IiLi2EEENS23_IiLi64EEEEEELb0EEES2T_EEENS5_IJST_SU_SV_SW_SX_EEENS5_IJS1I_SW_SX_NSS_IJLi5ELi6ELi7EEEENSS_IJLi8ELi9ELi10EEEEEEENSS_IJLi5ELi6ELi7ELi8ELi9ELi10EEEElEEEEES30_NS_31BlockToCTileMap_M00_N00_M01_N01ILi128ELi128ES1R_Lb0EEENS1_30ComputePtrOffsetOfStridedBatchILi1ELi1ELi1EvEELb1ELb1EEEvPKT0_S38_T1_PT2_T3_T4_T5_iT6_T7_T8_T9_T10_T11_, .Lfunc_end2-_ZN2ck16tensor_operation6device12_GLOBAL__N_137kernel_grouped_conv_fwd_dl_multiple_dINS_32GridwiseGemmDlMultipleD_km_kn_mnILi256EaiNS_5TupleIJaEEEaNS0_12element_wise11PassThroughES8_NS7_7AddReluELNS_25InMemoryDataOperationEnumE0ENS_16TensorDescriptorINS5_IJNS_5EmbedINS5_IJiiiEEESD_Lb0EEENS_11PassThroughIiEENS_3PadIiiiLb0EEESG_SG_NSC_INS5_IJiiEEESJ_Lb0EEESG_NS_23Merge_v2_magic_divisionISJ_EESM_NS_8RightPadIiiLb0EEESO_NS_7UnMergeISJ_Lb0EEESG_EEENS5_IJNS_8SequenceIJLi0EEEENSS_IJLi1EEEENSS_IJLi2EEEENSS_IJLi3EEEENSS_IJLi4EEEENSS_IJLi5EEEENSS_IJLi6EEEENSS_IJLi7ELi9EEEENSS_IJLi8ELi10EEEENSS_IJLi11EEEENSS_IJLi12EEEENSS_IJLi14EEEENSS_IJLi13EEEEEEENS5_IJNSS_IJLi1ELi2ELi3EEEESX_SY_SZ_NSS_IJLi7EEEENSS_IJLi8ELi9EEEENSS_IJLi10EEEES12_S13_S15_S14_NSS_IJLi15ELi16EEEENSS_IJLi17EEEEEEENSS_IJLi15ELi17ELi16EEEElEENSB_INS5_IJSQ_SO_SO_SQ_SG_EEENS5_IJST_SU_SV_SX_SW_EEENS5_IJNSS_IJLi1ELi2EEEESW_SX_NSS_IJLi5ELi6EEEES18_EEENSS_IJLi5ELi7ELi6EEEElEENSB_INS5_IJSK_SO_SO_EEENS5_IJST_SU_SV_EEENS5_IJS1I_SW_SX_EEENSS_IJLi3ELi4EEEElEELi128ELi128ELi16ELi4ELi4ELi4ELi1ENSS_IJLi8ELi2EEEES1S_NSS_IJLi8ELi1ELi1ELi4EEEENSS_IJLi2ELi1ELi128ELi1EEEENSS_IJLi1ELi2ELi0ELi3EEEES1V_NSS_IJLi4ELi1ELi1ELi4EEEES1V_NSS_IJLi1ELi1ELi1ELi4EEEES1T_S1U_S1V_S1V_S1W_S1V_S1X_NSS_IJLi0ELi1ELi2ELi3ELi4ELi5EEEELi5ELi4EEEaNS5_IJPKaEEEaS8_S8_S9_NSB_INS5_IJSE_SG_SI_SG_SG_SK_SG_SM_SM_SO_SO_SQ_SG_SG_NSP_INS5_IJiNS_17integral_constantIiLi128EEEEEELb0EEENSF_INS23_IiLi4EEEEEEEENS5_IJST_SU_SV_SW_SX_SY_SZ_S10_S11_S12_S13_S14_S15_NSS_IJLi15EEEES1C_NSS_IJLi16EEEEEEENS5_IJS17_SX_SY_SZ_S18_S19_S1A_S12_S13_S15_S14_S1B_S1C_NSS_IJLi18EEEENSS_IJLi19ELi20EEEENSS_IJLi21EEEEEEENSS_IJLi18ELi19ELi20ELi21EEEElEENSB_INS5_IJSQ_SO_SO_SQ_SG_SG_S26_S28_EEENS5_IJST_SU_SV_SX_SW_SY_S18_SZ_EEENS5_IJS1I_SW_SX_S1J_S18_NSS_IJLi8EEEENSS_IJLi9ELi10EEEES12_EEENSS_IJLi8ELi9ELi10ELi11EEEElEENS5_IJNSB_INS5_IJSK_SO_SO_NSP_INS5_IJiNS23_IiLi2EEENS23_IiLi64EEEEEELb0EEES2T_EEENS5_IJST_SU_SV_SW_SX_EEENS5_IJS1I_SW_SX_NSS_IJLi5ELi6ELi7EEEENSS_IJLi8ELi9ELi10EEEEEEENSS_IJLi5ELi6ELi7ELi8ELi9ELi10EEEElEEEEES30_NS_31BlockToCTileMap_M00_N00_M01_N01ILi128ELi128ES1R_Lb0EEENS1_30ComputePtrOffsetOfStridedBatchILi1ELi1ELi1EvEELb1ELb1EEEvPKT0_S38_T1_PT2_T3_T4_T5_iT6_T7_T8_T9_T10_T11_
                                        ; -- End function
	.section	.AMDGPU.csdata,"",@progbits
; Kernel info:
; codeLenInByte = 13908
; NumSgprs: 83
; NumVgprs: 114
; ScratchSize: 480
; MemoryBound: 0
; FloatMode: 240
; IeeeMode: 1
; LDSByteSize: 32768 bytes/workgroup (compile time only)
; SGPRBlocks: 10
; VGPRBlocks: 14
; NumSGPRsForWavesPerEU: 83
; NumVGPRsForWavesPerEU: 114
; Occupancy: 8
; WaveLimiterHint : 1
; COMPUTE_PGM_RSRC2:SCRATCH_EN: 1
; COMPUTE_PGM_RSRC2:USER_SGPR: 15
; COMPUTE_PGM_RSRC2:TRAP_HANDLER: 0
; COMPUTE_PGM_RSRC2:TGID_X_EN: 1
; COMPUTE_PGM_RSRC2:TGID_Y_EN: 0
; COMPUTE_PGM_RSRC2:TGID_Z_EN: 0
; COMPUTE_PGM_RSRC2:TIDIG_COMP_CNT: 0
	.section	.text._ZN2ck16tensor_operation6device12_GLOBAL__N_137kernel_grouped_conv_fwd_dl_multiple_dINS_32GridwiseGemmDlMultipleD_km_kn_mnILi256EaiNS_5TupleIJaEEEaNS0_12element_wise11PassThroughES8_NS7_7AddReluELNS_25InMemoryDataOperationEnumE0ENS_16TensorDescriptorINS5_IJNS_5EmbedINS5_IJiiiEEESD_Lb0EEENS_11PassThroughIiEENS_3PadIiiiLb0EEESG_SG_NSC_INS5_IJiiEEESJ_Lb0EEESG_NS_23Merge_v2_magic_divisionISJ_EESM_NS_8RightPadIiiLb0EEESO_NS_7UnMergeISJ_Lb0EEESG_EEENS5_IJNS_8SequenceIJLi0EEEENSS_IJLi1EEEENSS_IJLi2EEEENSS_IJLi3EEEENSS_IJLi4EEEENSS_IJLi5EEEENSS_IJLi6EEEENSS_IJLi7ELi9EEEENSS_IJLi8ELi10EEEENSS_IJLi11EEEENSS_IJLi12EEEENSS_IJLi14EEEENSS_IJLi13EEEEEEENS5_IJNSS_IJLi1ELi2ELi3EEEESX_SY_SZ_NSS_IJLi7EEEENSS_IJLi8ELi9EEEENSS_IJLi10EEEES12_S13_S15_S14_NSS_IJLi15ELi16EEEENSS_IJLi17EEEEEEENSS_IJLi15ELi17ELi16EEEElEENSB_INS5_IJSQ_SO_SO_SQ_SG_EEENS5_IJST_SU_SV_SX_SW_EEENS5_IJNSS_IJLi1ELi2EEEESW_SX_NSS_IJLi5ELi6EEEES18_EEENSS_IJLi5ELi7ELi6EEEElEENSB_INS5_IJSK_SO_SO_EEENS5_IJST_SU_SV_EEENS5_IJS1I_SW_SX_EEENSS_IJLi3ELi4EEEElEELi128ELi128ELi16ELi4ELi4ELi4ELi1ENSS_IJLi8ELi2EEEES1S_NSS_IJLi8ELi1ELi1ELi4EEEENSS_IJLi2ELi1ELi128ELi1EEEENSS_IJLi1ELi2ELi0ELi3EEEES1V_NSS_IJLi4ELi1ELi1ELi4EEEES1V_NSS_IJLi1ELi1ELi1ELi4EEEES1T_S1U_S1V_S1V_S1W_S1V_S1X_NSS_IJLi0ELi1ELi2ELi3ELi4ELi5EEEELi5ELi4EEEaNS5_IJPKaEEEaS8_S8_S9_NSB_INS5_IJSE_SG_SI_SG_SG_SK_SG_SM_SM_SO_SO_SQ_SG_SG_NSP_INS5_IJiNS_17integral_constantIiLi128EEEEEELb0EEENSF_INS23_IiLi4EEEEEEEENS5_IJST_SU_SV_SW_SX_SY_SZ_S10_S11_S12_S13_S14_S15_NSS_IJLi15EEEES1C_NSS_IJLi16EEEEEEENS5_IJS17_SX_SY_SZ_S18_S19_S1A_S12_S13_S15_S14_S1B_S1C_NSS_IJLi18EEEENSS_IJLi19ELi20EEEENSS_IJLi21EEEEEEENSS_IJLi18ELi19ELi20ELi21EEEElEENSB_INS5_IJSQ_SO_SO_SQ_SG_SG_S26_S28_EEENS5_IJST_SU_SV_SX_SW_SY_S18_SZ_EEENS5_IJS1I_SW_SX_S1J_S18_NSS_IJLi8EEEENSS_IJLi9ELi10EEEES12_EEENSS_IJLi8ELi9ELi10ELi11EEEElEENS5_IJNSB_INS5_IJSK_SO_SO_NSP_INS5_IJiNS23_IiLi2EEENS23_IiLi64EEEEEELb0EEES2T_EEENS5_IJST_SU_SV_SW_SX_EEENS5_IJS1I_SW_SX_NSS_IJLi5ELi6ELi7EEEENSS_IJLi8ELi9ELi10EEEEEEENSS_IJLi5ELi6ELi7ELi8ELi9ELi10EEEElEEEEES30_NS_31BlockToCTileMap_M00_N00_M01_N01ILi128ELi128ES1R_Lb0EEENS1_30ComputePtrOffsetOfStridedBatchILi1ELi1ELi1EvEELb1ELb0EEEvPKT0_S38_T1_PT2_T3_T4_T5_iT6_T7_T8_T9_T10_T11_,"axG",@progbits,_ZN2ck16tensor_operation6device12_GLOBAL__N_137kernel_grouped_conv_fwd_dl_multiple_dINS_32GridwiseGemmDlMultipleD_km_kn_mnILi256EaiNS_5TupleIJaEEEaNS0_12element_wise11PassThroughES8_NS7_7AddReluELNS_25InMemoryDataOperationEnumE0ENS_16TensorDescriptorINS5_IJNS_5EmbedINS5_IJiiiEEESD_Lb0EEENS_11PassThroughIiEENS_3PadIiiiLb0EEESG_SG_NSC_INS5_IJiiEEESJ_Lb0EEESG_NS_23Merge_v2_magic_divisionISJ_EESM_NS_8RightPadIiiLb0EEESO_NS_7UnMergeISJ_Lb0EEESG_EEENS5_IJNS_8SequenceIJLi0EEEENSS_IJLi1EEEENSS_IJLi2EEEENSS_IJLi3EEEENSS_IJLi4EEEENSS_IJLi5EEEENSS_IJLi6EEEENSS_IJLi7ELi9EEEENSS_IJLi8ELi10EEEENSS_IJLi11EEEENSS_IJLi12EEEENSS_IJLi14EEEENSS_IJLi13EEEEEEENS5_IJNSS_IJLi1ELi2ELi3EEEESX_SY_SZ_NSS_IJLi7EEEENSS_IJLi8ELi9EEEENSS_IJLi10EEEES12_S13_S15_S14_NSS_IJLi15ELi16EEEENSS_IJLi17EEEEEEENSS_IJLi15ELi17ELi16EEEElEENSB_INS5_IJSQ_SO_SO_SQ_SG_EEENS5_IJST_SU_SV_SX_SW_EEENS5_IJNSS_IJLi1ELi2EEEESW_SX_NSS_IJLi5ELi6EEEES18_EEENSS_IJLi5ELi7ELi6EEEElEENSB_INS5_IJSK_SO_SO_EEENS5_IJST_SU_SV_EEENS5_IJS1I_SW_SX_EEENSS_IJLi3ELi4EEEElEELi128ELi128ELi16ELi4ELi4ELi4ELi1ENSS_IJLi8ELi2EEEES1S_NSS_IJLi8ELi1ELi1ELi4EEEENSS_IJLi2ELi1ELi128ELi1EEEENSS_IJLi1ELi2ELi0ELi3EEEES1V_NSS_IJLi4ELi1ELi1ELi4EEEES1V_NSS_IJLi1ELi1ELi1ELi4EEEES1T_S1U_S1V_S1V_S1W_S1V_S1X_NSS_IJLi0ELi1ELi2ELi3ELi4ELi5EEEELi5ELi4EEEaNS5_IJPKaEEEaS8_S8_S9_NSB_INS5_IJSE_SG_SI_SG_SG_SK_SG_SM_SM_SO_SO_SQ_SG_SG_NSP_INS5_IJiNS_17integral_constantIiLi128EEEEEELb0EEENSF_INS23_IiLi4EEEEEEEENS5_IJST_SU_SV_SW_SX_SY_SZ_S10_S11_S12_S13_S14_S15_NSS_IJLi15EEEES1C_NSS_IJLi16EEEEEEENS5_IJS17_SX_SY_SZ_S18_S19_S1A_S12_S13_S15_S14_S1B_S1C_NSS_IJLi18EEEENSS_IJLi19ELi20EEEENSS_IJLi21EEEEEEENSS_IJLi18ELi19ELi20ELi21EEEElEENSB_INS5_IJSQ_SO_SO_SQ_SG_SG_S26_S28_EEENS5_IJST_SU_SV_SX_SW_SY_S18_SZ_EEENS5_IJS1I_SW_SX_S1J_S18_NSS_IJLi8EEEENSS_IJLi9ELi10EEEES12_EEENSS_IJLi8ELi9ELi10ELi11EEEElEENS5_IJNSB_INS5_IJSK_SO_SO_NSP_INS5_IJiNS23_IiLi2EEENS23_IiLi64EEEEEELb0EEES2T_EEENS5_IJST_SU_SV_SW_SX_EEENS5_IJS1I_SW_SX_NSS_IJLi5ELi6ELi7EEEENSS_IJLi8ELi9ELi10EEEEEEENSS_IJLi5ELi6ELi7ELi8ELi9ELi10EEEElEEEEES30_NS_31BlockToCTileMap_M00_N00_M01_N01ILi128ELi128ES1R_Lb0EEENS1_30ComputePtrOffsetOfStridedBatchILi1ELi1ELi1EvEELb1ELb0EEEvPKT0_S38_T1_PT2_T3_T4_T5_iT6_T7_T8_T9_T10_T11_,comdat
	.globl	_ZN2ck16tensor_operation6device12_GLOBAL__N_137kernel_grouped_conv_fwd_dl_multiple_dINS_32GridwiseGemmDlMultipleD_km_kn_mnILi256EaiNS_5TupleIJaEEEaNS0_12element_wise11PassThroughES8_NS7_7AddReluELNS_25InMemoryDataOperationEnumE0ENS_16TensorDescriptorINS5_IJNS_5EmbedINS5_IJiiiEEESD_Lb0EEENS_11PassThroughIiEENS_3PadIiiiLb0EEESG_SG_NSC_INS5_IJiiEEESJ_Lb0EEESG_NS_23Merge_v2_magic_divisionISJ_EESM_NS_8RightPadIiiLb0EEESO_NS_7UnMergeISJ_Lb0EEESG_EEENS5_IJNS_8SequenceIJLi0EEEENSS_IJLi1EEEENSS_IJLi2EEEENSS_IJLi3EEEENSS_IJLi4EEEENSS_IJLi5EEEENSS_IJLi6EEEENSS_IJLi7ELi9EEEENSS_IJLi8ELi10EEEENSS_IJLi11EEEENSS_IJLi12EEEENSS_IJLi14EEEENSS_IJLi13EEEEEEENS5_IJNSS_IJLi1ELi2ELi3EEEESX_SY_SZ_NSS_IJLi7EEEENSS_IJLi8ELi9EEEENSS_IJLi10EEEES12_S13_S15_S14_NSS_IJLi15ELi16EEEENSS_IJLi17EEEEEEENSS_IJLi15ELi17ELi16EEEElEENSB_INS5_IJSQ_SO_SO_SQ_SG_EEENS5_IJST_SU_SV_SX_SW_EEENS5_IJNSS_IJLi1ELi2EEEESW_SX_NSS_IJLi5ELi6EEEES18_EEENSS_IJLi5ELi7ELi6EEEElEENSB_INS5_IJSK_SO_SO_EEENS5_IJST_SU_SV_EEENS5_IJS1I_SW_SX_EEENSS_IJLi3ELi4EEEElEELi128ELi128ELi16ELi4ELi4ELi4ELi1ENSS_IJLi8ELi2EEEES1S_NSS_IJLi8ELi1ELi1ELi4EEEENSS_IJLi2ELi1ELi128ELi1EEEENSS_IJLi1ELi2ELi0ELi3EEEES1V_NSS_IJLi4ELi1ELi1ELi4EEEES1V_NSS_IJLi1ELi1ELi1ELi4EEEES1T_S1U_S1V_S1V_S1W_S1V_S1X_NSS_IJLi0ELi1ELi2ELi3ELi4ELi5EEEELi5ELi4EEEaNS5_IJPKaEEEaS8_S8_S9_NSB_INS5_IJSE_SG_SI_SG_SG_SK_SG_SM_SM_SO_SO_SQ_SG_SG_NSP_INS5_IJiNS_17integral_constantIiLi128EEEEEELb0EEENSF_INS23_IiLi4EEEEEEEENS5_IJST_SU_SV_SW_SX_SY_SZ_S10_S11_S12_S13_S14_S15_NSS_IJLi15EEEES1C_NSS_IJLi16EEEEEEENS5_IJS17_SX_SY_SZ_S18_S19_S1A_S12_S13_S15_S14_S1B_S1C_NSS_IJLi18EEEENSS_IJLi19ELi20EEEENSS_IJLi21EEEEEEENSS_IJLi18ELi19ELi20ELi21EEEElEENSB_INS5_IJSQ_SO_SO_SQ_SG_SG_S26_S28_EEENS5_IJST_SU_SV_SX_SW_SY_S18_SZ_EEENS5_IJS1I_SW_SX_S1J_S18_NSS_IJLi8EEEENSS_IJLi9ELi10EEEES12_EEENSS_IJLi8ELi9ELi10ELi11EEEElEENS5_IJNSB_INS5_IJSK_SO_SO_NSP_INS5_IJiNS23_IiLi2EEENS23_IiLi64EEEEEELb0EEES2T_EEENS5_IJST_SU_SV_SW_SX_EEENS5_IJS1I_SW_SX_NSS_IJLi5ELi6ELi7EEEENSS_IJLi8ELi9ELi10EEEEEEENSS_IJLi5ELi6ELi7ELi8ELi9ELi10EEEElEEEEES30_NS_31BlockToCTileMap_M00_N00_M01_N01ILi128ELi128ES1R_Lb0EEENS1_30ComputePtrOffsetOfStridedBatchILi1ELi1ELi1EvEELb1ELb0EEEvPKT0_S38_T1_PT2_T3_T4_T5_iT6_T7_T8_T9_T10_T11_ ; -- Begin function _ZN2ck16tensor_operation6device12_GLOBAL__N_137kernel_grouped_conv_fwd_dl_multiple_dINS_32GridwiseGemmDlMultipleD_km_kn_mnILi256EaiNS_5TupleIJaEEEaNS0_12element_wise11PassThroughES8_NS7_7AddReluELNS_25InMemoryDataOperationEnumE0ENS_16TensorDescriptorINS5_IJNS_5EmbedINS5_IJiiiEEESD_Lb0EEENS_11PassThroughIiEENS_3PadIiiiLb0EEESG_SG_NSC_INS5_IJiiEEESJ_Lb0EEESG_NS_23Merge_v2_magic_divisionISJ_EESM_NS_8RightPadIiiLb0EEESO_NS_7UnMergeISJ_Lb0EEESG_EEENS5_IJNS_8SequenceIJLi0EEEENSS_IJLi1EEEENSS_IJLi2EEEENSS_IJLi3EEEENSS_IJLi4EEEENSS_IJLi5EEEENSS_IJLi6EEEENSS_IJLi7ELi9EEEENSS_IJLi8ELi10EEEENSS_IJLi11EEEENSS_IJLi12EEEENSS_IJLi14EEEENSS_IJLi13EEEEEEENS5_IJNSS_IJLi1ELi2ELi3EEEESX_SY_SZ_NSS_IJLi7EEEENSS_IJLi8ELi9EEEENSS_IJLi10EEEES12_S13_S15_S14_NSS_IJLi15ELi16EEEENSS_IJLi17EEEEEEENSS_IJLi15ELi17ELi16EEEElEENSB_INS5_IJSQ_SO_SO_SQ_SG_EEENS5_IJST_SU_SV_SX_SW_EEENS5_IJNSS_IJLi1ELi2EEEESW_SX_NSS_IJLi5ELi6EEEES18_EEENSS_IJLi5ELi7ELi6EEEElEENSB_INS5_IJSK_SO_SO_EEENS5_IJST_SU_SV_EEENS5_IJS1I_SW_SX_EEENSS_IJLi3ELi4EEEElEELi128ELi128ELi16ELi4ELi4ELi4ELi1ENSS_IJLi8ELi2EEEES1S_NSS_IJLi8ELi1ELi1ELi4EEEENSS_IJLi2ELi1ELi128ELi1EEEENSS_IJLi1ELi2ELi0ELi3EEEES1V_NSS_IJLi4ELi1ELi1ELi4EEEES1V_NSS_IJLi1ELi1ELi1ELi4EEEES1T_S1U_S1V_S1V_S1W_S1V_S1X_NSS_IJLi0ELi1ELi2ELi3ELi4ELi5EEEELi5ELi4EEEaNS5_IJPKaEEEaS8_S8_S9_NSB_INS5_IJSE_SG_SI_SG_SG_SK_SG_SM_SM_SO_SO_SQ_SG_SG_NSP_INS5_IJiNS_17integral_constantIiLi128EEEEEELb0EEENSF_INS23_IiLi4EEEEEEEENS5_IJST_SU_SV_SW_SX_SY_SZ_S10_S11_S12_S13_S14_S15_NSS_IJLi15EEEES1C_NSS_IJLi16EEEEEEENS5_IJS17_SX_SY_SZ_S18_S19_S1A_S12_S13_S15_S14_S1B_S1C_NSS_IJLi18EEEENSS_IJLi19ELi20EEEENSS_IJLi21EEEEEEENSS_IJLi18ELi19ELi20ELi21EEEElEENSB_INS5_IJSQ_SO_SO_SQ_SG_SG_S26_S28_EEENS5_IJST_SU_SV_SX_SW_SY_S18_SZ_EEENS5_IJS1I_SW_SX_S1J_S18_NSS_IJLi8EEEENSS_IJLi9ELi10EEEES12_EEENSS_IJLi8ELi9ELi10ELi11EEEElEENS5_IJNSB_INS5_IJSK_SO_SO_NSP_INS5_IJiNS23_IiLi2EEENS23_IiLi64EEEEEELb0EEES2T_EEENS5_IJST_SU_SV_SW_SX_EEENS5_IJS1I_SW_SX_NSS_IJLi5ELi6ELi7EEEENSS_IJLi8ELi9ELi10EEEEEEENSS_IJLi5ELi6ELi7ELi8ELi9ELi10EEEElEEEEES30_NS_31BlockToCTileMap_M00_N00_M01_N01ILi128ELi128ES1R_Lb0EEENS1_30ComputePtrOffsetOfStridedBatchILi1ELi1ELi1EvEELb1ELb0EEEvPKT0_S38_T1_PT2_T3_T4_T5_iT6_T7_T8_T9_T10_T11_
	.p2align	8
	.type	_ZN2ck16tensor_operation6device12_GLOBAL__N_137kernel_grouped_conv_fwd_dl_multiple_dINS_32GridwiseGemmDlMultipleD_km_kn_mnILi256EaiNS_5TupleIJaEEEaNS0_12element_wise11PassThroughES8_NS7_7AddReluELNS_25InMemoryDataOperationEnumE0ENS_16TensorDescriptorINS5_IJNS_5EmbedINS5_IJiiiEEESD_Lb0EEENS_11PassThroughIiEENS_3PadIiiiLb0EEESG_SG_NSC_INS5_IJiiEEESJ_Lb0EEESG_NS_23Merge_v2_magic_divisionISJ_EESM_NS_8RightPadIiiLb0EEESO_NS_7UnMergeISJ_Lb0EEESG_EEENS5_IJNS_8SequenceIJLi0EEEENSS_IJLi1EEEENSS_IJLi2EEEENSS_IJLi3EEEENSS_IJLi4EEEENSS_IJLi5EEEENSS_IJLi6EEEENSS_IJLi7ELi9EEEENSS_IJLi8ELi10EEEENSS_IJLi11EEEENSS_IJLi12EEEENSS_IJLi14EEEENSS_IJLi13EEEEEEENS5_IJNSS_IJLi1ELi2ELi3EEEESX_SY_SZ_NSS_IJLi7EEEENSS_IJLi8ELi9EEEENSS_IJLi10EEEES12_S13_S15_S14_NSS_IJLi15ELi16EEEENSS_IJLi17EEEEEEENSS_IJLi15ELi17ELi16EEEElEENSB_INS5_IJSQ_SO_SO_SQ_SG_EEENS5_IJST_SU_SV_SX_SW_EEENS5_IJNSS_IJLi1ELi2EEEESW_SX_NSS_IJLi5ELi6EEEES18_EEENSS_IJLi5ELi7ELi6EEEElEENSB_INS5_IJSK_SO_SO_EEENS5_IJST_SU_SV_EEENS5_IJS1I_SW_SX_EEENSS_IJLi3ELi4EEEElEELi128ELi128ELi16ELi4ELi4ELi4ELi1ENSS_IJLi8ELi2EEEES1S_NSS_IJLi8ELi1ELi1ELi4EEEENSS_IJLi2ELi1ELi128ELi1EEEENSS_IJLi1ELi2ELi0ELi3EEEES1V_NSS_IJLi4ELi1ELi1ELi4EEEES1V_NSS_IJLi1ELi1ELi1ELi4EEEES1T_S1U_S1V_S1V_S1W_S1V_S1X_NSS_IJLi0ELi1ELi2ELi3ELi4ELi5EEEELi5ELi4EEEaNS5_IJPKaEEEaS8_S8_S9_NSB_INS5_IJSE_SG_SI_SG_SG_SK_SG_SM_SM_SO_SO_SQ_SG_SG_NSP_INS5_IJiNS_17integral_constantIiLi128EEEEEELb0EEENSF_INS23_IiLi4EEEEEEEENS5_IJST_SU_SV_SW_SX_SY_SZ_S10_S11_S12_S13_S14_S15_NSS_IJLi15EEEES1C_NSS_IJLi16EEEEEEENS5_IJS17_SX_SY_SZ_S18_S19_S1A_S12_S13_S15_S14_S1B_S1C_NSS_IJLi18EEEENSS_IJLi19ELi20EEEENSS_IJLi21EEEEEEENSS_IJLi18ELi19ELi20ELi21EEEElEENSB_INS5_IJSQ_SO_SO_SQ_SG_SG_S26_S28_EEENS5_IJST_SU_SV_SX_SW_SY_S18_SZ_EEENS5_IJS1I_SW_SX_S1J_S18_NSS_IJLi8EEEENSS_IJLi9ELi10EEEES12_EEENSS_IJLi8ELi9ELi10ELi11EEEElEENS5_IJNSB_INS5_IJSK_SO_SO_NSP_INS5_IJiNS23_IiLi2EEENS23_IiLi64EEEEEELb0EEES2T_EEENS5_IJST_SU_SV_SW_SX_EEENS5_IJS1I_SW_SX_NSS_IJLi5ELi6ELi7EEEENSS_IJLi8ELi9ELi10EEEEEEENSS_IJLi5ELi6ELi7ELi8ELi9ELi10EEEElEEEEES30_NS_31BlockToCTileMap_M00_N00_M01_N01ILi128ELi128ES1R_Lb0EEENS1_30ComputePtrOffsetOfStridedBatchILi1ELi1ELi1EvEELb1ELb0EEEvPKT0_S38_T1_PT2_T3_T4_T5_iT6_T7_T8_T9_T10_T11_,@function
_ZN2ck16tensor_operation6device12_GLOBAL__N_137kernel_grouped_conv_fwd_dl_multiple_dINS_32GridwiseGemmDlMultipleD_km_kn_mnILi256EaiNS_5TupleIJaEEEaNS0_12element_wise11PassThroughES8_NS7_7AddReluELNS_25InMemoryDataOperationEnumE0ENS_16TensorDescriptorINS5_IJNS_5EmbedINS5_IJiiiEEESD_Lb0EEENS_11PassThroughIiEENS_3PadIiiiLb0EEESG_SG_NSC_INS5_IJiiEEESJ_Lb0EEESG_NS_23Merge_v2_magic_divisionISJ_EESM_NS_8RightPadIiiLb0EEESO_NS_7UnMergeISJ_Lb0EEESG_EEENS5_IJNS_8SequenceIJLi0EEEENSS_IJLi1EEEENSS_IJLi2EEEENSS_IJLi3EEEENSS_IJLi4EEEENSS_IJLi5EEEENSS_IJLi6EEEENSS_IJLi7ELi9EEEENSS_IJLi8ELi10EEEENSS_IJLi11EEEENSS_IJLi12EEEENSS_IJLi14EEEENSS_IJLi13EEEEEEENS5_IJNSS_IJLi1ELi2ELi3EEEESX_SY_SZ_NSS_IJLi7EEEENSS_IJLi8ELi9EEEENSS_IJLi10EEEES12_S13_S15_S14_NSS_IJLi15ELi16EEEENSS_IJLi17EEEEEEENSS_IJLi15ELi17ELi16EEEElEENSB_INS5_IJSQ_SO_SO_SQ_SG_EEENS5_IJST_SU_SV_SX_SW_EEENS5_IJNSS_IJLi1ELi2EEEESW_SX_NSS_IJLi5ELi6EEEES18_EEENSS_IJLi5ELi7ELi6EEEElEENSB_INS5_IJSK_SO_SO_EEENS5_IJST_SU_SV_EEENS5_IJS1I_SW_SX_EEENSS_IJLi3ELi4EEEElEELi128ELi128ELi16ELi4ELi4ELi4ELi1ENSS_IJLi8ELi2EEEES1S_NSS_IJLi8ELi1ELi1ELi4EEEENSS_IJLi2ELi1ELi128ELi1EEEENSS_IJLi1ELi2ELi0ELi3EEEES1V_NSS_IJLi4ELi1ELi1ELi4EEEES1V_NSS_IJLi1ELi1ELi1ELi4EEEES1T_S1U_S1V_S1V_S1W_S1V_S1X_NSS_IJLi0ELi1ELi2ELi3ELi4ELi5EEEELi5ELi4EEEaNS5_IJPKaEEEaS8_S8_S9_NSB_INS5_IJSE_SG_SI_SG_SG_SK_SG_SM_SM_SO_SO_SQ_SG_SG_NSP_INS5_IJiNS_17integral_constantIiLi128EEEEEELb0EEENSF_INS23_IiLi4EEEEEEEENS5_IJST_SU_SV_SW_SX_SY_SZ_S10_S11_S12_S13_S14_S15_NSS_IJLi15EEEES1C_NSS_IJLi16EEEEEEENS5_IJS17_SX_SY_SZ_S18_S19_S1A_S12_S13_S15_S14_S1B_S1C_NSS_IJLi18EEEENSS_IJLi19ELi20EEEENSS_IJLi21EEEEEEENSS_IJLi18ELi19ELi20ELi21EEEElEENSB_INS5_IJSQ_SO_SO_SQ_SG_SG_S26_S28_EEENS5_IJST_SU_SV_SX_SW_SY_S18_SZ_EEENS5_IJS1I_SW_SX_S1J_S18_NSS_IJLi8EEEENSS_IJLi9ELi10EEEES12_EEENSS_IJLi8ELi9ELi10ELi11EEEElEENS5_IJNSB_INS5_IJSK_SO_SO_NSP_INS5_IJiNS23_IiLi2EEENS23_IiLi64EEEEEELb0EEES2T_EEENS5_IJST_SU_SV_SW_SX_EEENS5_IJS1I_SW_SX_NSS_IJLi5ELi6ELi7EEEENSS_IJLi8ELi9ELi10EEEEEEENSS_IJLi5ELi6ELi7ELi8ELi9ELi10EEEElEEEEES30_NS_31BlockToCTileMap_M00_N00_M01_N01ILi128ELi128ES1R_Lb0EEENS1_30ComputePtrOffsetOfStridedBatchILi1ELi1ELi1EvEELb1ELb0EEEvPKT0_S38_T1_PT2_T3_T4_T5_iT6_T7_T8_T9_T10_T11_: ; @_ZN2ck16tensor_operation6device12_GLOBAL__N_137kernel_grouped_conv_fwd_dl_multiple_dINS_32GridwiseGemmDlMultipleD_km_kn_mnILi256EaiNS_5TupleIJaEEEaNS0_12element_wise11PassThroughES8_NS7_7AddReluELNS_25InMemoryDataOperationEnumE0ENS_16TensorDescriptorINS5_IJNS_5EmbedINS5_IJiiiEEESD_Lb0EEENS_11PassThroughIiEENS_3PadIiiiLb0EEESG_SG_NSC_INS5_IJiiEEESJ_Lb0EEESG_NS_23Merge_v2_magic_divisionISJ_EESM_NS_8RightPadIiiLb0EEESO_NS_7UnMergeISJ_Lb0EEESG_EEENS5_IJNS_8SequenceIJLi0EEEENSS_IJLi1EEEENSS_IJLi2EEEENSS_IJLi3EEEENSS_IJLi4EEEENSS_IJLi5EEEENSS_IJLi6EEEENSS_IJLi7ELi9EEEENSS_IJLi8ELi10EEEENSS_IJLi11EEEENSS_IJLi12EEEENSS_IJLi14EEEENSS_IJLi13EEEEEEENS5_IJNSS_IJLi1ELi2ELi3EEEESX_SY_SZ_NSS_IJLi7EEEENSS_IJLi8ELi9EEEENSS_IJLi10EEEES12_S13_S15_S14_NSS_IJLi15ELi16EEEENSS_IJLi17EEEEEEENSS_IJLi15ELi17ELi16EEEElEENSB_INS5_IJSQ_SO_SO_SQ_SG_EEENS5_IJST_SU_SV_SX_SW_EEENS5_IJNSS_IJLi1ELi2EEEESW_SX_NSS_IJLi5ELi6EEEES18_EEENSS_IJLi5ELi7ELi6EEEElEENSB_INS5_IJSK_SO_SO_EEENS5_IJST_SU_SV_EEENS5_IJS1I_SW_SX_EEENSS_IJLi3ELi4EEEElEELi128ELi128ELi16ELi4ELi4ELi4ELi1ENSS_IJLi8ELi2EEEES1S_NSS_IJLi8ELi1ELi1ELi4EEEENSS_IJLi2ELi1ELi128ELi1EEEENSS_IJLi1ELi2ELi0ELi3EEEES1V_NSS_IJLi4ELi1ELi1ELi4EEEES1V_NSS_IJLi1ELi1ELi1ELi4EEEES1T_S1U_S1V_S1V_S1W_S1V_S1X_NSS_IJLi0ELi1ELi2ELi3ELi4ELi5EEEELi5ELi4EEEaNS5_IJPKaEEEaS8_S8_S9_NSB_INS5_IJSE_SG_SI_SG_SG_SK_SG_SM_SM_SO_SO_SQ_SG_SG_NSP_INS5_IJiNS_17integral_constantIiLi128EEEEEELb0EEENSF_INS23_IiLi4EEEEEEEENS5_IJST_SU_SV_SW_SX_SY_SZ_S10_S11_S12_S13_S14_S15_NSS_IJLi15EEEES1C_NSS_IJLi16EEEEEEENS5_IJS17_SX_SY_SZ_S18_S19_S1A_S12_S13_S15_S14_S1B_S1C_NSS_IJLi18EEEENSS_IJLi19ELi20EEEENSS_IJLi21EEEEEEENSS_IJLi18ELi19ELi20ELi21EEEElEENSB_INS5_IJSQ_SO_SO_SQ_SG_SG_S26_S28_EEENS5_IJST_SU_SV_SX_SW_SY_S18_SZ_EEENS5_IJS1I_SW_SX_S1J_S18_NSS_IJLi8EEEENSS_IJLi9ELi10EEEES12_EEENSS_IJLi8ELi9ELi10ELi11EEEElEENS5_IJNSB_INS5_IJSK_SO_SO_NSP_INS5_IJiNS23_IiLi2EEENS23_IiLi64EEEEEELb0EEES2T_EEENS5_IJST_SU_SV_SW_SX_EEENS5_IJS1I_SW_SX_NSS_IJLi5ELi6ELi7EEEENSS_IJLi8ELi9ELi10EEEEEEENSS_IJLi5ELi6ELi7ELi8ELi9ELi10EEEElEEEEES30_NS_31BlockToCTileMap_M00_N00_M01_N01ILi128ELi128ES1R_Lb0EEENS1_30ComputePtrOffsetOfStridedBatchILi1ELi1ELi1EvEELb1ELb0EEEvPKT0_S38_T1_PT2_T3_T4_T5_iT6_T7_T8_T9_T10_T11_
; %bb.0:
	s_clause 0x1
	s_load_b32 s2, s[0:1], 0x24
	s_load_b32 s4, s[0:1], 0x288
	s_mov_b32 s36, 0
	s_mov_b64 s[34:35], src_shared_base
	s_mov_b32 s37, s36
	s_mov_b32 s38, s36
	s_mov_b32 s39, s36
	v_mov_b32_e32 v17, s35
	v_dual_mov_b32 v41, s39 :: v_dual_mov_b32 v38, s36
	v_dual_mov_b32 v40, s38 :: v_dual_mov_b32 v39, s37
	v_lshlrev_b32_e32 v2, 3, v0
	s_clause 0x2
	s_load_b256 s[24:31], s[0:1], 0x34
	s_load_b128 s[8:11], s[0:1], 0x0
	s_load_b64 s[12:13], s[0:1], 0x18
	v_lshrrev_b32_e32 v21, 1, v0
	v_lshrrev_b32_e32 v6, 5, v0
	s_mov_b32 s66, 32
	s_mov_b32 s71, s36
	;; [unrolled: 1-line block ×3, first 2 shown]
	s_waitcnt lgkmcnt(0)
	s_abs_i32 s3, s2
	s_abs_i32 s7, s4
	v_cvt_f32_u32_e32 v1, s3
	s_sub_i32 s6, 0, s3
	s_xor_b32 s2, s4, s2
	s_movk_i32 s32, 0x1e0
	v_mov_b32_e32 v34, 0
	v_rcp_iflag_f32_e32 v1, v1
	v_and_b32_e32 v22, 8, v2
	s_delay_alu instid0(VALU_DEP_2)
	v_dual_mov_b32 v3, v34 :: v_dual_lshlrev_b32 v2, 6, v6
	v_mov_b32_e32 v11, v34
	v_mov_b32_e32 v13, v34
	v_mov_b32_e32 v4, v34
	v_mov_b32_e32 v12, v34
	v_mov_b32_e32 v15, v34
	s_delay_alu instid0(TRANS32_DEP_1) | instskip(NEXT) | instid1(VALU_DEP_1)
	v_mul_f32_e32 v1, 0x4f7ffffe, v1
	v_cvt_u32_f32_e32 v1, v1
	s_delay_alu instid0(VALU_DEP_1) | instskip(NEXT) | instid1(VALU_DEP_1)
	v_readfirstlane_b32 s5, v1
	s_mul_i32 s6, s6, s5
	s_delay_alu instid0(SALU_CYCLE_1) | instskip(NEXT) | instid1(SALU_CYCLE_1)
	s_mul_hi_u32 s6, s5, s6
	s_add_i32 s5, s5, s6
	s_ashr_i32 s6, s2, 31
	s_mul_hi_u32 s5, s7, s5
	s_delay_alu instid0(SALU_CYCLE_1) | instskip(NEXT) | instid1(SALU_CYCLE_1)
	s_mul_i32 s4, s5, s3
	s_sub_i32 s2, s7, s4
	s_add_i32 s4, s5, 1
	s_sub_i32 s7, s2, s3
	s_cmp_ge_u32 s2, s3
	s_cselect_b32 s4, s4, s5
	s_cselect_b32 s2, s7, s2
	s_add_i32 s5, s4, 1
	s_cmp_ge_u32 s2, s3
	s_clause 0x7
	s_load_b64 s[58:59], s[0:1], 0x60
	s_load_b32 s14, s[0:1], 0x70
	s_load_b32 s33, s[0:1], 0x78
	;; [unrolled: 1-line block ×7, first 2 shown]
	s_cselect_b32 s2, s5, s4
	s_abs_i32 s38, s15
	s_xor_b32 s4, s2, s6
	s_clause 0x6
	s_load_b32 s31, s[0:1], 0xc4
	s_load_b32 s73, s[0:1], 0xd0
	;; [unrolled: 1-line block ×7, first 2 shown]
	s_sub_i32 s40, s4, s6
	s_clause 0x3
	s_load_b32 s46, s[0:1], 0x148
	s_load_b64 s[56:57], s[0:1], 0x158
	s_load_b32 s27, s[0:1], 0x164
	s_load_b32 s60, s[0:1], 0x170
	s_abs_i32 s41, s40
	s_clause 0x2
	s_load_b32 s47, s[0:1], 0x204
	s_load_b32 s65, s[0:1], 0x214
	s_load_b128 s[4:7], s[0:1], 0x220
	v_cvt_f32_u32_e32 v1, s41
	s_sub_i32 s37, 0, s41
	s_clause 0x2
	s_load_b128 s[52:55], s[0:1], 0x234
	s_load_b128 s[48:51], s[0:1], 0x248
	s_load_b256 s[16:23], s[0:1], 0x260
	s_clause 0x3
	scratch_store_b128 off, v[38:41], off offset:144
	scratch_store_b128 off, v[38:41], off offset:160
	;; [unrolled: 1-line block ×4, first 2 shown]
	v_rcp_iflag_f32_e32 v1, v1
	v_lshlrev_b32_e32 v8, 1, v0
	v_lshlrev_b32_e32 v0, 2, v0
	s_clause 0x1
	scratch_store_b128 off, v[38:41], off offset:208
	scratch_store_b128 off, v[38:41], off offset:224
	s_waitcnt lgkmcnt(0)
	v_mul_lo_u32 v23, s31, v22
	s_clause 0x9
	scratch_store_b128 off, v[38:41], off offset:240
	scratch_store_b128 off, v[38:41], off offset:256
	;; [unrolled: 1-line block ×10, first 2 shown]
	v_mul_f32_e32 v5, 0x4f7ffffe, v1
	v_mov_b32_e32 v1, v34
	v_mov_b32_e32 v7, v34
	;; [unrolled: 1-line block ×3, first 2 shown]
	v_mul_lo_u32 v25, s74, v22
	v_cvt_u32_f32_e32 v10, v5
	v_mov_b32_e32 v5, v34
	s_delay_alu instid0(VALU_DEP_2) | instskip(SKIP_2) | instid1(VALU_DEP_3)
	v_readfirstlane_b32 s35, v10
	v_and_b32_e32 v10, 0x1f8, v8
	v_and_b32_e32 v8, 0x1fc, v8
	s_mul_i32 s37, s37, s35
	s_delay_alu instid0(VALU_DEP_2) | instskip(SKIP_1) | instid1(VALU_DEP_2)
	v_sub_nc_u32_e32 v2, v10, v2
	s_mul_hi_u32 s37, s35, s37
	v_sub_nc_u32_e32 v8, v8, v10
	s_add_i32 s35, s35, s37
	s_xor_b32 s37, s15, s40
	s_mul_hi_u32 s35, s38, s35
	s_ashr_i32 s37, s37, 31
	s_mul_i32 s39, s35, s41
	v_lshl_add_u32 v35, v6, 3, v8
	s_sub_i32 s38, s38, s39
	s_add_i32 s39, s35, 1
	s_sub_i32 s40, s38, s41
	s_cmp_ge_u32 s38, s41
	v_and_or_b32 v37, v0, 4, v2
	s_cselect_b32 s35, s39, s35
	s_cselect_b32 s38, s40, s38
	s_add_i32 s39, s35, 1
	s_cmp_ge_u32 s38, s41
	v_mul_hi_u32 v2, v23, s62
	s_cselect_b32 s35, s39, s35
	v_lshlrev_b32_e32 v0, 2, v35
	s_xor_b32 s35, s35, s37
	v_lshlrev_b32_e32 v8, 2, v37
	s_sub_i32 s39, s35, s37
	s_mul_hi_u32 s35, s55, s15
	s_ashr_i32 s55, s39, 31
	s_mul_hi_u32 s37, s16, s39
	s_mul_i32 s38, s16, s39
	s_mul_hi_u32 s40, s18, s39
	s_mul_i32 s44, s18, s39
	;; [unrolled: 2-line block ×3, first 2 shown]
	s_mul_i32 s18, s18, s55
	s_mul_i32 s45, s22, s55
	;; [unrolled: 1-line block ×5, first 2 shown]
	s_add_i32 s16, s37, s16
	s_add_i32 s18, s40, s18
	;; [unrolled: 1-line block ×6, first 2 shown]
	s_add_u32 s40, s8, s38
	s_addc_u32 s41, s9, s17
	s_add_u32 s44, s10, s44
	s_addc_u32 s45, s11, s18
	s_add_i32 s8, s15, s35
	v_add_nc_u32_e32 v10, v23, v2
	s_lshr_b32 s8, s8, s51
	s_lshl_b32 s77, s31, 2
	s_mul_hi_u32 s9, s8, s54
	v_add_nc_u32_e32 v42, s77, v23
	s_add_i32 s9, s8, s9
	v_lshrrev_b32_e32 v26, s63, v10
	s_lshr_b32 s9, s9, s50
	s_sub_i32 s28, s28, s30
	s_mul_hi_u32 s10, s9, s53
	v_mul_hi_u32 v20, v42, s62
	s_add_i32 s10, s9, s10
	v_mul_lo_u32 v18, v26, s58
	s_lshr_b32 s10, s10, s49
	v_mul_lo_u32 v28, v26, s61
	s_mul_hi_u32 s11, s10, s52
	s_mov_b32 s49, 64
	s_add_i32 s11, s10, s11
	v_add_nc_u32_e32 v30, v42, v20
	s_lshr_b32 s11, s11, s48
	s_movk_i32 s50, 0x190
	s_mul_i32 s11, s11, s4
	s_mul_i32 s4, s9, s6
	s_sub_i32 s6, s10, s11
	s_sub_i32 s37, s8, s4
	s_mul_i32 s6, s6, s47
	s_mul_i32 s10, s10, s5
	s_add_i32 s37, s37, s6
	s_mul_i32 s8, s8, s7
	v_lshl_or_b32 v24, s37, 7, v21
	s_sub_i32 s4, s9, s10
	v_lshrrev_b32_e32 v55, s63, v30
	s_lshl_b32 s5, s74, 2
	v_mov_b32_e32 v36, v34
	v_mul_hi_u32 v6, v24, s33
	v_mov_b32_e32 v2, v35
	s_sub_i32 s38, s15, s8
	s_mul_i32 s4, s4, s65
	s_mul_i32 s6, s31, 12
	s_add_i32 s38, s38, s4
	s_add_i32 s77, s77, s6
	v_lshl_or_b32 v31, s38, 7, v21
	v_add_nc_u32_e32 v14, v24, v6
	v_mov_b32_e32 v6, v35
	v_cmp_gt_i32_e64 s4, s64, v25
	s_mov_b64 s[10:11], src_private_base
	v_cmp_gt_i32_e64 s2, s2, v31
	v_lshrrev_b32_e32 v27, s34, v14
	v_mov_b32_e32 v14, v37
	v_cmp_gt_i32_e64 s3, s3, v24
	s_movk_i32 s48, 0x1a0
	s_movk_i32 s54, 0x1b0
	v_mul_lo_u32 v19, v27, s14
	s_mov_b32 s65, 0
	s_mov_b32 s51, s11
	;; [unrolled: 1-line block ×7, first 2 shown]
	v_sub_nc_u32_e32 v29, v24, v19
	s_mul_i32 s17, s22, s39
	s_sub_i32 s73, s73, 32
	s_lshl_b32 s75, s31, 5
	s_sub_i32 s76, 0, s61
	v_mad_u64_u32 v[19:20], null, v29, s59, v[18:19]
	v_or_b32_e32 v20, 20, v22
	v_mov_b32_e32 v10, v37
	v_or_b32_e32 v18, 32, v22
	s_movk_i32 s59, 0x1c0
	s_delay_alu instid0(VALU_DEP_3)
	v_mul_lo_u32 v47, s31, v20
	v_mov_b32_e32 v16, v34
	v_cmp_le_i32_e64 s6, s29, v19
	v_cmp_gt_i32_e64 s7, s28, v19
	v_mul_lo_u32 v46, s31, v18
	v_mul_lo_u32 v44, s74, v18
	;; [unrolled: 1-line block ×3, first 2 shown]
	v_mov_b32_e32 v53, v47
	s_clause 0x1
	scratch_store_b64 off, v[16:17], off offset:400
	scratch_store_b8 off, v34, off offset:409
	v_mov_b32_e32 v16, 0x4000
	s_clause 0x1
	scratch_store_b64 off, v[16:17], off offset:416
	scratch_store_b8 off, v34, off offset:425
	;; [unrolled: 4-line block ×3, first 2 shown]
	scratch_store_b128 off, v[34:37], off offset:64
	scratch_store_b128 off, v[0:3], off offset:80
	v_subrev_nc_u32_e32 v0, s29, v19
	v_mul_lo_u32 v1, v55, s61
	v_mov_b32_e32 v16, 0x6000
	s_clause 0x2
	scratch_store_b128 off, v[4:7], off offset:96
	scratch_store_b128 off, v[8:11], off offset:112
	;; [unrolled: 1-line block ×3, first 2 shown]
	v_mul_lo_u32 v36, v31, s43
	v_mul_lo_u32 v9, v0, s25
	v_sub_nc_u32_e32 v0, v55, v26
	v_sub_nc_u32_e32 v4, v23, v28
	s_clause 0x1
	scratch_store_b64 off, v[16:17], off offset:448
	scratch_store_b8 off, v34, off offset:457
	v_sub_nc_u32_e32 v58, v42, v1
	v_mul_lo_u32 v8, v27, s24
	v_mul_lo_u32 v16, v0, s58
	;; [unrolled: 1-line block ×3, first 2 shown]
	v_add_nc_u32_e32 v2, v36, v25
	v_sub_nc_u32_e32 v11, v58, v4
	s_mov_b32 s43, 0x31004000
	v_lshlrev_b32_e32 v17, 2, v21
	s_mov_b32 s47, s43
	v_add_nc_u32_e32 v5, s5, v2
	v_mul_lo_u32 v12, v16, s25
	v_mul_lo_u32 v11, v11, s26
	buffer_load_b128 v[0:3], v2, s[44:47], 0 offen
	v_add3_u32 v8, v8, v10, v9
	buffer_load_b128 v[4:7], v5, s[44:47], 0 offen
	v_lshl_or_b32 v34, v22, 9, v17
	v_or_b32_e32 v17, 36, v22
	v_add_nc_u32_e32 v57, v19, v16
	s_and_b32 s6, s6, s7
	v_add3_u32 v56, v11, v12, v8
	s_clause 0x1
	buffer_load_b128 v[8:11], v8, s[40:43], 0 offen
	buffer_load_b128 v[12:15], v56, s[40:43], 0 offen
	s_clause 0x1
	s_load_b64 s[14:15], s[0:1], 0x1e8
	s_load_b32 s53, s[0:1], 0xb4
	v_mul_lo_u32 v43, s74, v17
	v_mul_lo_u32 v45, s31, v17
	v_add_nc_u32_e32 v17, s5, v25
	s_clause 0x3
	s_load_b64 s[18:19], s[0:1], 0x198
	s_load_b64 s[34:35], s[0:1], 0x1a8
	s_load_b32 s24, s[0:1], 0x1b4
	s_load_b32 s33, s[0:1], 0x1c0
	v_or_b32_e32 v21, 16, v22
	v_cmp_le_i32_e64 s8, s29, v57
	v_cmp_gt_i32_e64 s9, s28, v57
	v_cmp_gt_i32_e64 s10, s64, v17
	v_mov_b32_e32 v52, v46
	v_mul_lo_u32 v48, s31, v21
	v_mul_lo_u32 v50, s74, v21
	s_and_b32 s7, s8, s9
	v_mov_b32_e32 v51, v45
	s_waitcnt lgkmcnt(0)
	s_movk_i32 s15, 0x90
	s_mov_b32 s19, s11
	s_lshl_b32 s74, s74, 5
	v_mov_b32_e32 v54, v48
	v_cmp_gt_i32_e32 vcc_lo, s53, v23
	v_cmp_gt_i32_e64 s5, s53, v42
	s_and_b32 s6, vcc_lo, s6
	s_and_b32 vcc_lo, s4, s2
	s_delay_alu instid0(VALU_DEP_1)
	s_and_b32 s5, s5, s7
	s_waitcnt vmcnt(3)
	v_cndmask_b32_e32 v0, 0, v0, vcc_lo
	v_dual_cndmask_b32 v2, 0, v2 :: v_dual_cndmask_b32 v3, 0, v3
	v_cndmask_b32_e32 v1, 0, v1, vcc_lo
	s_and_b32 vcc_lo, s10, s2
	s_delay_alu instid0(VALU_DEP_3)
	v_perm_b32 v0, v0, v0, 0x3020104
	s_waitcnt vmcnt(2)
	v_cndmask_b32_e32 v4, 0, v4, vcc_lo
	v_cndmask_b32_e32 v6, 0, v6, vcc_lo
	v_perm_b32 v2, v2, v2, 0x3020104
	v_cndmask_b32_e32 v7, 0, v7, vcc_lo
	v_cndmask_b32_e32 v5, 0, v5, vcc_lo
	s_and_b32 vcc_lo, s3, s6
	ds_store_2addr_stride64_b32 v34, v0, v1 offset0:64 offset1:66
	ds_store_2addr_stride64_b32 v34, v2, v3 offset0:68 offset1:70
	v_perm_b32 v0, v4, v4, 0x3020104
	v_perm_b32 v1, v6, v6, 0x3020104
	s_waitcnt vmcnt(1)
	v_dual_cndmask_b32 v2, 0, v11 :: v_dual_cndmask_b32 v3, 0, v10
	v_cndmask_b32_e32 v4, 0, v9, vcc_lo
	v_cndmask_b32_e32 v6, 0, v8, vcc_lo
	s_and_b32 vcc_lo, s3, s5
	s_waitcnt vmcnt(0)
	v_dual_cndmask_b32 v9, 0, v12 :: v_dual_cndmask_b32 v10, 0, v14
	s_delay_alu instid0(VALU_DEP_2) | instskip(SKIP_2) | instid1(VALU_DEP_4)
	v_perm_b32 v6, v6, v6, 0x3020104
	v_perm_b32 v3, v3, v3, 0x3020104
	v_cndmask_b32_e32 v11, 0, v13, vcc_lo
	v_perm_b32 v9, v9, v9, 0x3020104
	v_cndmask_b32_e32 v8, 0, v15, vcc_lo
	v_perm_b32 v10, v10, v10, 0x3020104
	ds_store_2addr_stride64_b32 v34, v0, v5 offset0:72 offset1:74
	ds_store_2addr_stride64_b32 v34, v6, v4 offset1:2
	ds_store_2addr_stride64_b32 v34, v3, v2 offset0:4 offset1:6
	ds_store_2addr_stride64_b32 v34, v9, v11 offset0:8 offset1:10
	;; [unrolled: 1-line block ×4, first 2 shown]
.LBB3_1:                                ; =>This Inner Loop Header: Depth=1
	v_mul_hi_u32 v0, s62, v54
	v_add_nc_u32_e32 v33, s36, v48
	v_mul_hi_u32 v1, s62, v53
	v_add_nc_u32_e32 v32, s36, v47
	v_add_nc_u32_e32 v4, v49, v36
	s_getpc_b64 s[22:23]
	s_add_u32 s22, s22, _ZNK2ck6detail15static_for_implINS_8SequenceIJLi1ELi2ELi3ELi4ELi5ELi6ELi7ELi8ELi9ELi10ELi11ELi12ELi13ELi14ELi15EEEEEclIZNKS_80BlockwiseGemmDl_A_BK0_BM_BK1_B_BK0_BN_BK1_C_BM0_BM1_BN0_BN1_pipeline_BM0_2_BN0_2ILi256EaaiKNS_16TensorDescriptorINS_5TupleIJNS_5EmbedINS8_IJNS_17integral_constantIiLi16EEENSA_IiLi128EEENSA_IiLi4EEEEEENS8_IJNSA_IiLi512EEESD_NSA_IiLi1EEEEEELb0EEEEEENS8_IJNS2_IJLi0EEEEEEENS8_IJNS2_IJLi1ELi2ELi3EEEEEEESM_NSA_IlLl8192EEEEESQ_Li4ELi4ELi1ENS2_IJLi8ELi2EEEESR_Li4ELi4ELb0EE3RunINS7_INS8_IJNS_7UnMergeINS8_IJNSA_IiLi2EEESD_SV_SD_EEELb0EEEEEESL_NS8_IJNS2_IJLi1ELi2ELi3ELi4EEEEEEESZ_NSA_IlLl64EEEEENS_13DynamicBufferILNS_16AddressSpaceEnumE2EaSO_Lb1ELNS_22AmdBufferCoherenceEnumE0EiEES16_NS_12StaticBufferILS14_4EiLi64ELb1EEEEEvRKT_RKT0_RKT1_RT2_EUlS19_E_EEvS19_@rel32@lo+4
	s_addc_u32 s23, s23, _ZNK2ck6detail15static_for_implINS_8SequenceIJLi1ELi2ELi3ELi4ELi5ELi6ELi7ELi8ELi9ELi10ELi11ELi12ELi13ELi14ELi15EEEEEclIZNKS_80BlockwiseGemmDl_A_BK0_BM_BK1_B_BK0_BN_BK1_C_BM0_BM1_BN0_BN1_pipeline_BM0_2_BN0_2ILi256EaaiKNS_16TensorDescriptorINS_5TupleIJNS_5EmbedINS8_IJNS_17integral_constantIiLi16EEENSA_IiLi128EEENSA_IiLi4EEEEEENS8_IJNSA_IiLi512EEESD_NSA_IiLi1EEEEEELb0EEEEEENS8_IJNS2_IJLi0EEEEEEENS8_IJNS2_IJLi1ELi2ELi3EEEEEEESM_NSA_IlLl8192EEEEESQ_Li4ELi4ELi1ENS2_IJLi8ELi2EEEESR_Li4ELi4ELb0EE3RunINS7_INS8_IJNS_7UnMergeINS8_IJNSA_IiLi2EEESD_SV_SD_EEELb0EEEEEESL_NS8_IJNS2_IJLi1ELi2ELi3ELi4EEEEEEESZ_NSA_IlLl64EEEEENS_13DynamicBufferILNS_16AddressSpaceEnumE2EaSO_Lb1ELNS_22AmdBufferCoherenceEnumE0EiEES16_NS_12StaticBufferILS14_4EiLi64ELb1EEEEEvRKT_RKT0_RKT1_RT2_EUlS19_E_EEvS19_@rel32@hi+12
	v_mul_hi_u32 v95, s62, v51
	v_add_nc_u32_e32 v0, v33, v0
	v_add_nc_u32_e32 v1, v32, v1
	s_delay_alu instid0(VALU_DEP_2) | instskip(NEXT) | instid1(VALU_DEP_2)
	v_lshrrev_b32_e32 v0, s63, v0
	v_lshrrev_b32_e32 v92, s63, v1
	s_delay_alu instid0(VALU_DEP_2) | instskip(SKIP_1) | instid1(VALU_DEP_3)
	v_mul_lo_u32 v2, s76, v0
	v_sub_nc_u32_e32 v1, v0, v55
	v_mad_u64_u32 v[90:91], null, s76, v92, v[32:33]
	v_sub_nc_u32_e32 v0, v92, v0
	s_delay_alu instid0(VALU_DEP_3) | instskip(SKIP_2) | instid1(VALU_DEP_4)
	v_mul_lo_u32 v91, v1, s58
	v_sub_nc_u32_e32 v1, v2, v58
	v_add_nc_u32_e32 v2, v33, v2
	v_mul_lo_u32 v93, v0, s58
	s_delay_alu instid0(VALU_DEP_3) | instskip(SKIP_1) | instid1(VALU_DEP_4)
	v_add_nc_u32_e32 v1, v33, v1
	v_mul_lo_u32 v0, v91, s25
	v_sub_nc_u32_e32 v2, v90, v2
	s_delay_alu instid0(VALU_DEP_4) | instskip(NEXT) | instid1(VALU_DEP_4)
	v_mul_lo_u32 v3, v93, s25
	v_mul_lo_u32 v1, v1, s26
	s_delay_alu instid0(VALU_DEP_3) | instskip(NEXT) | instid1(VALU_DEP_2)
	v_mul_lo_u32 v2, v2, s26
	v_add3_u32 v8, v0, v56, v1
	v_add_nc_u32_e32 v0, v50, v36
	s_delay_alu instid0(VALU_DEP_2)
	v_add3_u32 v94, v8, v3, v2
	s_clause 0x1
	buffer_load_b128 v[0:3], v0, s[44:47], 0 offen
	buffer_load_b128 v[4:7], v4, s[44:47], 0 offen
	s_clause 0x1
	buffer_load_b128 v[8:11], v8, s[40:43], 0 offen
	buffer_load_b128 v[12:15], v94, s[40:43], 0 offen
	s_waitcnt vmcnt(0) lgkmcnt(0)
	s_waitcnt_vscnt null, 0x0
	s_barrier
	s_clause 0x3
	scratch_load_b32 v18, off, off offset:80
	scratch_load_b64 v[16:17], off, off offset:400
	scratch_load_b32 v22, off, off offset:112
	scratch_load_b64 v[20:21], off, off offset:416
	s_clause 0x3
	scratch_store_b128 off, v[38:41], off
	scratch_store_b128 off, v[38:41], off offset:16
	scratch_store_b128 off, v[38:41], off offset:32
	scratch_store_b128 off, v[38:41], off offset:48
	s_waitcnt vmcnt(3)
	v_ashrrev_i32_e32 v19, 31, v18
	s_waitcnt vmcnt(2)
	v_add_co_u32 v55, vcc_lo, v16, v18
	s_waitcnt vmcnt(1)
	v_ashrrev_i32_e32 v23, 31, v22
	v_add_co_ci_u32_e32 v56, vcc_lo, v17, v19, vcc_lo
	s_waitcnt vmcnt(0)
	v_add_co_u32 v24, vcc_lo, v20, v22
	s_delay_alu instid0(VALU_DEP_3)
	v_add_co_ci_u32_e32 v25, vcc_lo, v21, v23, vcc_lo
	flat_load_b128 v[16:19], v[55:56]
	v_cmp_gt_i32_e32 vcc_lo, s53, v33
	s_waitcnt vmcnt(0) lgkmcnt(0)
	scratch_store_b128 off, v[16:19], off
	flat_load_b128 v[20:23], v[24:25]
	s_waitcnt vmcnt(0) lgkmcnt(0)
	scratch_store_b128 off, v[20:23], off offset:32
	flat_load_b128 v[24:27], v[24:25] offset:256
	s_clause 0x7
	scratch_load_b128 v[28:31], off, off offset:144
	scratch_load_b128 v[58:61], off, off offset:176
	;; [unrolled: 1-line block ×8, first 2 shown]
	s_waitcnt vmcnt(8) lgkmcnt(0)
	scratch_store_b128 off, v[24:27], off offset:48
	flat_load_b128 v[86:89], v[55:56] offset:256
	v_add_nc_u32_e32 v55, v91, v57
	v_add_nc_u32_e32 v56, s71, v50
	;; [unrolled: 1-line block ×3, first 2 shown]
	v_mul_hi_u32 v91, s62, v52
	s_delay_alu instid0(VALU_DEP_4)
	v_cmp_le_i32_e64 s4, s29, v55
	v_cmp_gt_i32_e64 s5, s28, v55
	v_cmp_gt_i32_e64 s9, s64, v56
	;; [unrolled: 1-line block ×3, first 2 shown]
	s_waitcnt vmcnt(2)
	v_dot4_i32_iu8 v56, v18, v25, v79 neg_lo:[1,1,0]
	v_dot4_i32_iu8 v57, v18, v26, v80 neg_lo:[1,1,0]
	s_and_b32 s4, s4, s5
	s_delay_alu instid0(SALU_CYCLE_1)
	s_and_b32 s4, vcc_lo, s4
	s_and_b32 vcc_lo, s2, s9
	v_dual_cndmask_b32 v98, 0, v1 :: v_dual_add_nc_u32 v93, v93, v55
	v_cndmask_b32_e32 v99, 0, v0, vcc_lo
	v_cmp_gt_i32_e64 s8, s53, v32
	v_cndmask_b32_e32 v96, 0, v3, vcc_lo
	s_delay_alu instid0(VALU_DEP_4)
	v_cmp_le_i32_e64 s6, s29, v93
	v_cmp_gt_i32_e64 s7, s28, v93
	v_cndmask_b32_e32 v97, 0, v2, vcc_lo
	s_and_b32 vcc_lo, s2, s10
	v_dot4_i32_iu8 v0, v16, v20, v28 neg_lo:[1,1,0]
	v_cndmask_b32_e32 v100, 0, v7, vcc_lo
	s_and_b32 s5, s6, s7
	v_cndmask_b32_e32 v101, 0, v6, vcc_lo
	s_and_b32 s5, s8, s5
	v_dual_cndmask_b32 v102, 0, v5 :: v_dual_cndmask_b32 v103, 0, v4
	s_and_b32 vcc_lo, s3, s4
	v_dot4_i32_iu8 v1, v16, v21, v29 neg_lo:[1,1,0]
	v_dual_cndmask_b32 v104, 0, v11 :: v_dual_cndmask_b32 v105, 0, v10
	v_dual_cndmask_b32 v106, 0, v9 :: v_dual_cndmask_b32 v107, 0, v8
	s_and_b32 vcc_lo, s3, s5
	v_dot4_i32_iu8 v2, v16, v22, v30 neg_lo:[1,1,0]
	v_cndmask_b32_e32 v111, 0, v12, vcc_lo
	v_dot4_i32_iu8 v3, v16, v23, v31 neg_lo:[1,1,0]
	v_dual_cndmask_b32 v108, 0, v15 :: v_dual_cndmask_b32 v109, 0, v14
	v_cndmask_b32_e32 v110, 0, v13, vcc_lo
	v_dot4_i32_iu8 v4, v17, v20, v58 neg_lo:[1,1,0]
	v_dot4_i32_iu8 v5, v17, v21, v59 neg_lo:[1,1,0]
	;; [unrolled: 1-line block ×22, first 2 shown]
	s_waitcnt vmcnt(1)
	v_dot4_i32_iu8 v16, v19, v24, v82 neg_lo:[1,1,0]
	v_dot4_i32_iu8 v17, v19, v25, v83 neg_lo:[1,1,0]
	;; [unrolled: 1-line block ×4, first 2 shown]
	s_clause 0x7
	scratch_store_b128 off, v[0:3], off offset:144
	scratch_store_b128 off, v[20:23], off offset:160
	;; [unrolled: 1-line block ×8, first 2 shown]
	s_waitcnt vmcnt(0) lgkmcnt(0)
	scratch_store_b128 off, v[86:89], off offset:16
	v_dual_mov_b32 v1, s11 :: v_dual_mov_b32 v0, s49
	v_dual_mov_b32 v2, s50 :: v_dual_mov_b32 v3, s52
	;; [unrolled: 1-line block ×6, first 2 shown]
	s_swappc_b64 s[30:31], s[22:23]
	s_clause 0xe
	scratch_load_b32 v67, off, off offset:16
	scratch_load_b32 v68, off, off offset:32
	scratch_load_b128 v[0:3], off, off offset:272
	scratch_load_b128 v[4:7], off, off offset:32
	;; [unrolled: 1-line block ×6, first 2 shown]
	scratch_load_b32 v8, off, off offset:48
	scratch_load_b128 v[24:27], off, off offset:288
	scratch_load_b128 v[28:31], off, off offset:48
	;; [unrolled: 1-line block ×5, first 2 shown]
	scratch_load_b64 v[32:33], off, off offset:432
	v_perm_b32 v69, v107, v107, 0x3020104
	v_perm_b32 v70, v105, v105, 0x3020104
	v_perm_b32 v71, v111, v111, 0x3020104
	v_perm_b32 v72, v109, v109, 0x3020104
	v_add3_u32 v42, s77, s77, v42
	s_waitcnt vmcnt(12)
	v_dot4_i32_iu8 v0, v67, v68, v0 neg_lo:[1,1,0]
	s_waitcnt vmcnt(11)
	v_dot4_i32_iu8 v1, v67, v5, v1 neg_lo:[1,1,0]
	v_dot4_i32_iu8 v2, v67, v6, v2 neg_lo:[1,1,0]
	v_dot4_i32_iu8 v3, v67, v7, v3 neg_lo:[1,1,0]
	s_waitcnt vmcnt(9)
	v_dot4_i32_iu8 v13, v9, v5, v13 neg_lo:[1,1,0]
	v_dot4_i32_iu8 v14, v9, v6, v14 neg_lo:[1,1,0]
	v_dot4_i32_iu8 v15, v9, v7, v15 neg_lo:[1,1,0]
	s_waitcnt vmcnt(8)
	v_dot4_i32_iu8 v17, v10, v5, v17 neg_lo:[1,1,0]
	v_dot4_i32_iu8 v18, v10, v6, v18 neg_lo:[1,1,0]
	v_dot4_i32_iu8 v19, v10, v7, v19 neg_lo:[1,1,0]
	s_waitcnt vmcnt(7)
	v_dot4_i32_iu8 v4, v11, v68, v20 neg_lo:[1,1,0]
	v_dot4_i32_iu8 v5, v11, v5, v21 neg_lo:[1,1,0]
	v_dot4_i32_iu8 v6, v11, v6, v22 neg_lo:[1,1,0]
	v_dot4_i32_iu8 v7, v11, v7, v23 neg_lo:[1,1,0]
	s_waitcnt vmcnt(5)
	v_dot4_i32_iu8 v20, v67, v8, v24 neg_lo:[1,1,0]
	s_waitcnt vmcnt(4)
	v_dot4_i32_iu8 v21, v67, v29, v25 neg_lo:[1,1,0]
	v_dot4_i32_iu8 v22, v67, v30, v26 neg_lo:[1,1,0]
	;; [unrolled: 1-line block ×4, first 2 shown]
	s_waitcnt vmcnt(3)
	v_dot4_i32_iu8 v24, v9, v8, v55 neg_lo:[1,1,0]
	v_dot4_i32_iu8 v25, v9, v29, v56 neg_lo:[1,1,0]
	;; [unrolled: 1-line block ×4, first 2 shown]
	s_waitcnt vmcnt(0)
	v_add_co_u32 v28, vcc_lo, v32, v34
	v_dot4_i32_iu8 v16, v10, v68, v16 neg_lo:[1,1,0]
	v_dot4_i32_iu8 v55, v10, v8, v59 neg_lo:[1,1,0]
	;; [unrolled: 1-line block ×9, first 2 shown]
	v_add_co_ci_u32_e32 v29, vcc_lo, 0, v33, vcc_lo
	s_clause 0x7
	scratch_store_b128 off, v[0:3], off offset:272
	scratch_store_b128 off, v[20:23], off offset:288
	;; [unrolled: 1-line block ×8, first 2 shown]
	s_clause 0x7
	flat_store_b32 v[28:29], v69
	flat_store_b32 v[28:29], v106 offset:512
	flat_store_b32 v[28:29], v70 offset:1024
	;; [unrolled: 1-line block ×7, first 2 shown]
	scratch_load_b64 v[20:21], off, off offset:448
	v_add_nc_u32_e32 v57, s36, v46
	v_add_nc_u32_e32 v58, s36, v45
	v_perm_b32 v4, v99, v99, 0x3020104
	v_perm_b32 v5, v97, v97, 0x3020104
	v_add_nc_u32_e32 v9, v44, v36
	v_add_nc_u32_e32 v0, v57, v91
	;; [unrolled: 1-line block ×3, first 2 shown]
	v_perm_b32 v6, v103, v103, 0x3020104
	v_add_nc_u32_e32 v12, v43, v36
	s_delay_alu instid0(VALU_DEP_4) | instskip(NEXT) | instid1(VALU_DEP_4)
	v_lshrrev_b32_e32 v2, s63, v0
	v_lshrrev_b32_e32 v55, s63, v1
	s_delay_alu instid0(VALU_DEP_2) | instskip(SKIP_1) | instid1(VALU_DEP_2)
	v_sub_nc_u32_e32 v3, v2, v92
	v_mad_u64_u32 v[0:1], null, s76, v2, v[57:58]
	v_mul_lo_u32 v91, v3, s58
	s_delay_alu instid0(VALU_DEP_4) | instskip(SKIP_1) | instid1(VALU_DEP_4)
	v_sub_nc_u32_e32 v3, v55, v2
	v_mad_u64_u32 v[1:2], null, s76, v55, v[58:59]
	v_sub_nc_u32_e32 v2, v0, v90
	s_delay_alu instid0(VALU_DEP_3) | instskip(SKIP_1) | instid1(VALU_DEP_3)
	v_mul_lo_u32 v92, v3, s58
	v_mul_lo_u32 v3, v91, s25
	;; [unrolled: 1-line block ×3, first 2 shown]
	v_sub_nc_u32_e32 v0, v1, v0
	s_delay_alu instid0(VALU_DEP_4) | instskip(NEXT) | instid1(VALU_DEP_2)
	v_mul_lo_u32 v7, v92, s25
	v_mul_lo_u32 v8, v0, s26
	s_delay_alu instid0(VALU_DEP_4) | instskip(SKIP_1) | instid1(VALU_DEP_2)
	v_add3_u32 v2, v2, v3, v94
	v_perm_b32 v3, v101, v101, 0x3020104
	v_add3_u32 v56, v8, v7, v2
	s_waitcnt vmcnt(0)
	v_add_co_u32 v0, vcc_lo, v20, v34
	v_add_co_ci_u32_e32 v1, vcc_lo, 0, v21, vcc_lo
	s_clause 0x7
	flat_store_b32 v[0:1], v4
	flat_store_b32 v[0:1], v98 offset:512
	flat_store_b32 v[0:1], v5 offset:1024
	;; [unrolled: 1-line block ×7, first 2 shown]
	s_clause 0x1
	buffer_load_b128 v[0:3], v2, s[40:43], 0 offen
	buffer_load_b128 v[4:7], v56, s[40:43], 0 offen
	s_clause 0x1
	buffer_load_b128 v[8:11], v9, s[44:47], 0 offen
	buffer_load_b128 v[12:15], v12, s[44:47], 0 offen
	s_waitcnt vmcnt(0) lgkmcnt(0)
	s_waitcnt_vscnt null, 0x0
	s_barrier
	s_clause 0x1
	scratch_load_b32 v16, off, off offset:80
	scratch_load_b32 v22, off, off offset:112
	s_clause 0x3
	scratch_store_b128 off, v[38:41], off
	scratch_store_b128 off, v[38:41], off offset:16
	scratch_store_b128 off, v[38:41], off offset:32
	;; [unrolled: 1-line block ×3, first 2 shown]
	s_waitcnt vmcnt(1)
	v_ashrrev_i32_e32 v17, 31, v16
	v_add_co_u32 v32, vcc_lo, v32, v16
	s_waitcnt vmcnt(0)
	v_ashrrev_i32_e32 v23, 31, v22
	s_delay_alu instid0(VALU_DEP_3) | instskip(SKIP_1) | instid1(VALU_DEP_3)
	v_add_co_ci_u32_e32 v33, vcc_lo, v33, v17, vcc_lo
	v_add_co_u32 v24, vcc_lo, v20, v22
	v_add_co_ci_u32_e32 v25, vcc_lo, v21, v23, vcc_lo
	flat_load_b128 v[16:19], v[32:33]
	v_cmp_gt_i32_e32 vcc_lo, s53, v57
	s_waitcnt vmcnt(0) lgkmcnt(0)
	scratch_store_b128 off, v[16:19], off
	flat_load_b128 v[20:23], v[24:25]
	s_waitcnt vmcnt(0) lgkmcnt(0)
	scratch_store_b128 off, v[20:23], off offset:32
	flat_load_b128 v[24:27], v[24:25] offset:256
	s_clause 0x7
	scratch_load_b128 v[28:31], off, off offset:144
	scratch_load_b128 v[59:62], off, off offset:176
	;; [unrolled: 1-line block ×8, first 2 shown]
	s_waitcnt vmcnt(8) lgkmcnt(0)
	scratch_store_b128 off, v[24:27], off offset:48
	flat_load_b128 v[87:90], v[32:33] offset:256
	v_add_nc_u32_e32 v32, v91, v93
	v_add_nc_u32_e32 v91, s71, v43
	;; [unrolled: 1-line block ×3, first 2 shown]
	s_delay_alu instid0(VALU_DEP_3)
	v_cmp_le_i32_e64 s5, s29, v32
	v_cmp_gt_i32_e64 s6, s28, v32
	v_add_nc_u32_e32 v57, v92, v32
	v_mul_lo_u32 v92, v55, s61
	v_cmp_gt_i32_e64 s10, s64, v91
	v_cmp_gt_i32_e64 s9, s64, v33
	s_and_b32 s5, s5, s6
	v_cmp_le_i32_e64 s7, s29, v57
	s_and_b32 s5, vcc_lo, s5
	v_cmp_gt_i32_e64 s8, s28, v57
	s_and_b32 vcc_lo, s3, s5
	v_cndmask_b32_e32 v91, 0, v3, vcc_lo
	v_cmp_gt_i32_e64 s4, s53, v58
	s_delay_alu instid0(VALU_DEP_3) | instskip(SKIP_2) | instid1(VALU_DEP_3)
	s_and_b32 s6, s7, s8
	v_sub_nc_u32_e32 v58, v42, v92
	v_dual_cndmask_b32 v92, 0, v2 :: v_dual_cndmask_b32 v93, 0, v1
	s_and_b32 s4, s4, s6
	v_cndmask_b32_e32 v94, 0, v0, vcc_lo
	s_and_b32 vcc_lo, s3, s4
	s_waitcnt vmcnt(8)
	v_dot4_i32_iu8 v0, v16, v20, v28 neg_lo:[1,1,0]
	v_dual_cndmask_b32 v95, 0, v7 :: v_dual_cndmask_b32 v96, 0, v6
	v_dual_cndmask_b32 v97, 0, v5 :: v_dual_cndmask_b32 v98, 0, v4
	s_and_b32 vcc_lo, s2, s9
	v_dot4_i32_iu8 v1, v16, v21, v29 neg_lo:[1,1,0]
	v_dual_cndmask_b32 v102, 0, v8 :: v_dual_cndmask_b32 v99, 0, v11
	v_dual_cndmask_b32 v100, 0, v10 :: v_dual_cndmask_b32 v101, 0, v9
	s_and_b32 vcc_lo, s2, s10
	v_dot4_i32_iu8 v2, v16, v22, v30 neg_lo:[1,1,0]
	v_cndmask_b32_e32 v106, 0, v12, vcc_lo
	v_dot4_i32_iu8 v3, v16, v23, v31 neg_lo:[1,1,0]
	v_dual_cndmask_b32 v103, 0, v15 :: v_dual_cndmask_b32 v104, 0, v14
	v_cndmask_b32_e32 v105, 0, v13, vcc_lo
	s_waitcnt vmcnt(7)
	v_dot4_i32_iu8 v4, v17, v20, v59 neg_lo:[1,1,0]
	v_dot4_i32_iu8 v5, v17, v21, v60 neg_lo:[1,1,0]
	v_dot4_i32_iu8 v6, v17, v22, v61 neg_lo:[1,1,0]
	v_dot4_i32_iu8 v7, v17, v23, v62 neg_lo:[1,1,0]
	s_waitcnt vmcnt(6)
	v_dot4_i32_iu8 v8, v18, v20, v63 neg_lo:[1,1,0]
	v_dot4_i32_iu8 v9, v18, v21, v64 neg_lo:[1,1,0]
	v_dot4_i32_iu8 v10, v18, v22, v65 neg_lo:[1,1,0]
	v_dot4_i32_iu8 v11, v18, v23, v66 neg_lo:[1,1,0]
	;; [unrolled: 5-line block ×7, first 2 shown]
	s_clause 0x7
	scratch_store_b128 off, v[0:3], off offset:144
	scratch_store_b128 off, v[20:23], off offset:160
	;; [unrolled: 1-line block ×8, first 2 shown]
	s_waitcnt vmcnt(0) lgkmcnt(0)
	scratch_store_b128 off, v[87:90], off offset:16
	v_mov_b32_e32 v2, s54
	v_dual_mov_b32 v0, s49 :: v_dual_mov_b32 v1, s11
	v_dual_mov_b32 v4, s65 :: v_dual_mov_b32 v3, s67
	v_dual_mov_b32 v6, s66 :: v_dual_mov_b32 v5, s69
	v_dual_mov_b32 v8, s15 :: v_dual_mov_b32 v7, s70
	v_dual_mov_b32 v10, s59 :: v_dual_mov_b32 v9, s51
	v_mov_b32_e32 v11, s68
	s_swappc_b64 s[30:31], s[22:23]
	s_clause 0xe
	scratch_load_b32 v71, off, off offset:16
	scratch_load_b32 v72, off, off offset:32
	scratch_load_b128 v[0:3], off, off offset:272
	scratch_load_b128 v[4:7], off, off offset:32
	;; [unrolled: 1-line block ×6, first 2 shown]
	scratch_load_b32 v8, off, off offset:48
	scratch_load_b128 v[24:27], off, off offset:288
	scratch_load_b128 v[28:31], off, off offset:48
	;; [unrolled: 1-line block ×5, first 2 shown]
	scratch_load_b64 v[32:33], off, off offset:400
	v_perm_b32 v73, v94, v94, 0x3020104
	v_perm_b32 v74, v92, v92, 0x3020104
	;; [unrolled: 1-line block ×4, first 2 shown]
	v_add_nc_u32_e32 v36, s74, v36
	v_add_nc_u32_e32 v54, s75, v54
	;; [unrolled: 1-line block ×5, first 2 shown]
	s_add_i32 s72, s72, 32
	s_add_i32 s71, s71, s74
	;; [unrolled: 1-line block ×3, first 2 shown]
	s_cmp_lt_i32 s72, s73
	s_waitcnt vmcnt(12)
	v_dot4_i32_iu8 v0, v71, v72, v0 neg_lo:[1,1,0]
	s_waitcnt vmcnt(11)
	v_dot4_i32_iu8 v1, v71, v5, v1 neg_lo:[1,1,0]
	v_dot4_i32_iu8 v2, v71, v6, v2 neg_lo:[1,1,0]
	v_dot4_i32_iu8 v3, v71, v7, v3 neg_lo:[1,1,0]
	s_waitcnt vmcnt(9)
	v_dot4_i32_iu8 v13, v9, v5, v13 neg_lo:[1,1,0]
	v_dot4_i32_iu8 v14, v9, v6, v14 neg_lo:[1,1,0]
	;; [unrolled: 4-line block ×4, first 2 shown]
	v_dot4_i32_iu8 v6, v11, v6, v22 neg_lo:[1,1,0]
	v_dot4_i32_iu8 v7, v11, v7, v23 neg_lo:[1,1,0]
	s_waitcnt vmcnt(5)
	v_dot4_i32_iu8 v20, v71, v8, v24 neg_lo:[1,1,0]
	s_waitcnt vmcnt(4)
	v_dot4_i32_iu8 v21, v71, v29, v25 neg_lo:[1,1,0]
	v_dot4_i32_iu8 v22, v71, v30, v26 neg_lo:[1,1,0]
	;; [unrolled: 1-line block ×4, first 2 shown]
	s_waitcnt vmcnt(3)
	v_dot4_i32_iu8 v24, v9, v8, v59 neg_lo:[1,1,0]
	v_dot4_i32_iu8 v25, v9, v29, v60 neg_lo:[1,1,0]
	;; [unrolled: 1-line block ×4, first 2 shown]
	s_waitcnt vmcnt(0)
	v_add_co_u32 v28, vcc_lo, v32, v34
	v_dot4_i32_iu8 v16, v10, v72, v16 neg_lo:[1,1,0]
	v_dot4_i32_iu8 v59, v10, v8, v63 neg_lo:[1,1,0]
	;; [unrolled: 1-line block ×9, first 2 shown]
	v_add_co_ci_u32_e32 v29, vcc_lo, 0, v33, vcc_lo
	s_clause 0x7
	scratch_store_b128 off, v[0:3], off offset:272
	scratch_store_b128 off, v[20:23], off offset:288
	;; [unrolled: 1-line block ×8, first 2 shown]
	s_clause 0x7
	flat_store_b32 v[28:29], v73
	flat_store_b32 v[28:29], v93 offset:512
	flat_store_b32 v[28:29], v74 offset:1024
	;; [unrolled: 1-line block ×7, first 2 shown]
	scratch_load_b64 v[0:1], off, off offset:416
	v_perm_b32 v2, v102, v102, 0x3020104
	v_perm_b32 v3, v100, v100, 0x3020104
	;; [unrolled: 1-line block ×4, first 2 shown]
	s_waitcnt vmcnt(0)
	v_add_co_u32 v0, vcc_lo, v0, v34
	v_add_co_ci_u32_e32 v1, vcc_lo, 0, v1, vcc_lo
	s_clause 0x7
	flat_store_b32 v[0:1], v2
	flat_store_b32 v[0:1], v101 offset:512
	flat_store_b32 v[0:1], v3 offset:1024
	;; [unrolled: 1-line block ×7, first 2 shown]
	s_cbranch_scc1 .LBB3_1
; %bb.2:
	s_waitcnt lgkmcnt(0)
	s_waitcnt_vscnt null, 0x0
	s_barrier
	buffer_gl0_inv
	s_clause 0x1
	scratch_load_b32 v8, off, off offset:80
	scratch_load_b64 v[4:5], off, off offset:400
	s_mov_b32 s4, 0
	s_clause 0x1
	scratch_load_b32 v9, off, off offset:112
	scratch_load_b64 v[6:7], off, off offset:416
	s_mov_b32 s5, s4
	s_mov_b32 s6, s4
	;; [unrolled: 1-line block ×3, first 2 shown]
	v_dual_mov_b32 v0, s4 :: v_dual_mov_b32 v1, s5
	v_dual_mov_b32 v2, s6 :: v_dual_mov_b32 v3, s7
	s_clause 0x3
	scratch_store_b128 off, v[0:3], off
	scratch_store_b128 off, v[0:3], off offset:16
	scratch_store_b128 off, v[0:3], off offset:32
	;; [unrolled: 1-line block ×3, first 2 shown]
	s_load_b64 s[0:1], s[0:1], 0x10
	s_mul_i32 s2, s20, s55
	s_mul_hi_u32 s3, s20, s39
	s_add_u32 s12, s12, s17
	s_addc_u32 s13, s13, s16
	s_add_i32 s6, s3, s2
	s_mov_b64 s[2:3], src_private_base
	s_mul_i32 s4, s21, s39
	s_mul_i32 s5, s20, s39
	s_add_i32 s6, s6, s4
	s_waitcnt lgkmcnt(0)
	s_add_u32 s16, s0, s5
	s_addc_u32 s17, s1, s6
	s_waitcnt vmcnt(3)
	v_ashrrev_i32_e32 v10, 31, v8
	s_waitcnt vmcnt(2)
	v_add_co_u32 v32, vcc_lo, v4, v8
	s_waitcnt vmcnt(1)
	v_ashrrev_i32_e32 v4, 31, v9
	v_add_co_ci_u32_e32 v33, vcc_lo, v5, v10, vcc_lo
	s_waitcnt vmcnt(0)
	v_add_co_u32 v8, vcc_lo, v6, v9
	s_delay_alu instid0(VALU_DEP_3)
	v_add_co_ci_u32_e32 v9, vcc_lo, v7, v4, vcc_lo
	flat_load_b128 v[0:3], v[32:33]
	s_waitcnt vmcnt(0) lgkmcnt(0)
	scratch_store_b128 off, v[0:3], off
	flat_load_b128 v[4:7], v[8:9]
	s_waitcnt vmcnt(0) lgkmcnt(0)
	scratch_store_b128 off, v[4:7], off offset:32
	flat_load_b128 v[8:11], v[8:9] offset:256
	s_clause 0x7
	scratch_load_b128 v[12:15], off, off offset:144
	scratch_load_b128 v[16:19], off, off offset:176
	;; [unrolled: 1-line block ×8, first 2 shown]
	s_waitcnt vmcnt(8) lgkmcnt(0)
	scratch_store_b128 off, v[8:11], off offset:48
	flat_load_b128 v[50:53], v[32:33] offset:256
	s_waitcnt vmcnt(8)
	v_dot4_i32_iu8 v12, v0, v4, v12 neg_lo:[1,1,0]
	v_dot4_i32_iu8 v13, v0, v5, v13 neg_lo:[1,1,0]
	v_dot4_i32_iu8 v14, v0, v6, v14 neg_lo:[1,1,0]
	v_dot4_i32_iu8 v15, v0, v7, v15 neg_lo:[1,1,0]
	s_waitcnt vmcnt(7)
	v_dot4_i32_iu8 v16, v1, v4, v16 neg_lo:[1,1,0]
	v_dot4_i32_iu8 v17, v1, v5, v17 neg_lo:[1,1,0]
	v_dot4_i32_iu8 v18, v1, v6, v18 neg_lo:[1,1,0]
	v_dot4_i32_iu8 v19, v1, v7, v19 neg_lo:[1,1,0]
	;; [unrolled: 5-line block ×8, first 2 shown]
	v_mov_b32_e32 v8, s15
	v_dual_mov_b32 v10, s48 :: v_dual_mov_b32 v11, s19
	s_clause 0x7
	scratch_store_b128 off, v[12:15], off offset:144
	scratch_store_b128 off, v[24:27], off offset:160
	;; [unrolled: 1-line block ×8, first 2 shown]
	s_waitcnt vmcnt(0) lgkmcnt(0)
	scratch_store_b128 off, v[50:53], off offset:16
	v_dual_mov_b32 v0, s49 :: v_dual_mov_b32 v1, s11
	v_dual_mov_b32 v2, s50 :: v_dual_mov_b32 v3, s52
	;; [unrolled: 1-line block ×4, first 2 shown]
	v_mov_b32_e32 v7, s3
	s_swappc_b64 s[30:31], s[22:23]
	s_clause 0xd
	scratch_load_b32 v36, off, off offset:16
	scratch_load_b32 v62, off, off offset:32
	scratch_load_b128 v[0:3], off, off offset:272
	scratch_load_b128 v[4:7], off, off offset:32
	;; [unrolled: 1-line block ×6, first 2 shown]
	scratch_load_b32 v38, off, off offset:48
	scratch_load_b128 v[28:31], off, off offset:288
	scratch_load_b128 v[42:45], off, off offset:48
	;; [unrolled: 1-line block ×5, first 2 shown]
	v_lshl_add_u32 v53, s37, 7, v35
	v_lshl_add_u32 v52, s38, 7, v37
	s_mov_b32 s19, 0x31004000
	s_lshl_b32 s3, s57, 6
	s_mov_b32 s15, s19
	s_waitcnt vmcnt(10)
	v_mul_lo_u32 v4, v53, s56
	v_cmp_gt_i32_e64 s0, s60, v52
	v_cmp_gt_i32_e64 s1, s27, v53
	s_add_i32 s2, s3, s56
	v_or_b32_e32 v68, 2, v53
	v_or_b32_e32 v69, 3, v53
	s_delay_alu instid0(VALU_DEP_3)
	s_and_b32 vcc_lo, s1, s0
	v_dot4_i32_iu8 v32, v36, v62, v0 neg_lo:[1,1,0]
	v_mad_u64_u32 v[50:51], null, v52, s57, v[4:5]
	v_dot4_i32_iu8 v33, v36, v5, v1 neg_lo:[1,1,0]
	v_dot4_i32_iu8 v34, v36, v6, v2 neg_lo:[1,1,0]
	;; [unrolled: 1-line block ×3, first 2 shown]
	s_waitcnt vmcnt(4)
	v_dot4_i32_iu8 v28, v36, v38, v28 neg_lo:[1,1,0]
	s_waitcnt vmcnt(3)
	v_dot4_i32_iu8 v29, v36, v43, v29 neg_lo:[1,1,0]
	v_dot4_i32_iu8 v30, v36, v44, v30 neg_lo:[1,1,0]
	;; [unrolled: 1-line block ×11, first 2 shown]
	s_waitcnt vmcnt(2)
	v_dot4_i32_iu8 v20, v39, v38, v46 neg_lo:[1,1,0]
	v_dot4_i32_iu8 v21, v39, v43, v47 neg_lo:[1,1,0]
	;; [unrolled: 1-line block ×8, first 2 shown]
	s_waitcnt vmcnt(1)
	v_dot4_i32_iu8 v12, v40, v38, v54 neg_lo:[1,1,0]
	v_dot4_i32_iu8 v13, v40, v43, v55 neg_lo:[1,1,0]
	;; [unrolled: 1-line block ×4, first 2 shown]
	s_waitcnt vmcnt(0)
	v_dot4_i32_iu8 v4, v41, v38, v58 neg_lo:[1,1,0]
	v_dot4_i32_iu8 v5, v41, v43, v59 neg_lo:[1,1,0]
	;; [unrolled: 1-line block ×4, first 2 shown]
	s_clause 0x7
	scratch_store_b128 off, v[32:35], off offset:272
	scratch_store_b128 off, v[28:31], off offset:288
	scratch_store_b128 off, v[24:27], off offset:304
	scratch_store_b128 off, v[20:23], off offset:320
	scratch_store_b128 off, v[16:19], off offset:336
	scratch_store_b128 off, v[12:15], off offset:352
	scratch_store_b128 off, v[8:11], off offset:368
	scratch_store_b128 off, v[4:7], off offset:384
	buffer_load_b32 v36, v50, s[16:19], 0 offen
	scratch_load_b128 v[0:3], off, off offset:144
	v_or_b32_e32 v55, 1, v53
	s_waitcnt vmcnt(1)
	v_cndmask_b32_e32 v40, 0, v36, vcc_lo
	scratch_load_b128 v[36:39], off, off offset:160
	v_lshrrev_b32_e32 v41, 8, v40
	s_waitcnt vmcnt(1)
	s_delay_alu instid0(VALU_DEP_1) | instskip(NEXT) | instid1(VALU_DEP_1)
	v_add_nc_u16 v1, v41, v1
	v_bfe_i32 v1, v1, 0, 8
	s_delay_alu instid0(VALU_DEP_1) | instskip(NEXT) | instid1(VALU_DEP_1)
	v_max_i16 v1, v1, 0
	v_and_b32_e32 v1, 0xffff, v1
	v_lshrrev_b32_e32 v42, 16, v40
	v_lshrrev_b32_e32 v43, 24, v40
	v_add_nc_u16 v0, v40, v0
	v_add_nc_u32_e32 v40, s3, v50
	s_delay_alu instid0(VALU_DEP_4) | instskip(NEXT) | instid1(VALU_DEP_4)
	v_add_nc_u16 v2, v42, v2
	v_add_nc_u16 v3, v43, v3
	s_delay_alu instid0(VALU_DEP_4) | instskip(NEXT) | instid1(VALU_DEP_3)
	v_bfe_i32 v0, v0, 0, 8
	v_bfe_i32 v2, v2, 0, 8
	s_delay_alu instid0(VALU_DEP_3) | instskip(NEXT) | instid1(VALU_DEP_3)
	v_bfe_i32 v3, v3, 0, 8
	v_max_i16 v0, v0, 0
	s_delay_alu instid0(VALU_DEP_3) | instskip(NEXT) | instid1(VALU_DEP_3)
	v_max_i16 v54, v2, 0
	v_max_i16 v3, v3, 0
	s_delay_alu instid0(VALU_DEP_3) | instskip(NEXT) | instid1(VALU_DEP_3)
	v_and_b32_e32 v0, 0xffff, v0
	v_and_b32_e32 v2, 0xffff, v54
	s_delay_alu instid0(VALU_DEP_3) | instskip(SKIP_3) | instid1(VALU_DEP_1)
	v_and_b32_e32 v3, 0xffff, v3
	scratch_store_b128 off, v[0:3], off offset:144
	buffer_load_b32 v41, v40, s[16:19], 0 offen
	v_add_nc_u32_e32 v2, 64, v52
	v_cmp_gt_i32_e32 vcc_lo, s60, v2
	s_and_b32 s1, s1, vcc_lo
	s_waitcnt vmcnt(0)
	v_cndmask_b32_e64 v41, 0, v41, s1
	s_lshl_b32 s1, s57, 7
	s_delay_alu instid0(SALU_CYCLE_1) | instskip(SKIP_1) | instid1(VALU_DEP_2)
	s_sub_i32 s4, s2, s1
	v_cmp_gt_i32_e64 s1, s27, v55
	v_lshrrev_b32_e32 v42, 8, v41
	v_lshrrev_b32_e32 v43, 16, v41
	;; [unrolled: 1-line block ×3, first 2 shown]
	v_add_nc_u16 v36, v41, v36
	s_and_b32 s2, s1, s0
	v_add_nc_u16 v37, v42, v37
	v_add_nc_u16 v38, v43, v38
	;; [unrolled: 1-line block ×3, first 2 shown]
	v_bfe_i32 v36, v36, 0, 8
	v_add_nc_u32_e32 v44, s4, v40
	v_bfe_i32 v37, v37, 0, 8
	v_bfe_i32 v38, v38, 0, 8
	;; [unrolled: 1-line block ×3, first 2 shown]
	v_max_i16 v36, v36, 0
	scratch_load_b128 v[40:43], off, off offset:176
	v_max_i16 v37, v37, 0
	v_max_i16 v38, v38, 0
	;; [unrolled: 1-line block ×3, first 2 shown]
	v_and_b32_e32 v36, 0xffff, v36
	s_and_b32 s1, s1, vcc_lo
	v_and_b32_e32 v37, 0xffff, v37
	v_and_b32_e32 v38, 0xffff, v38
	;; [unrolled: 1-line block ×3, first 2 shown]
	scratch_store_b128 off, v[36:39], off offset:160
	buffer_load_b32 v36, v44, s[16:19], 0 offen
	s_waitcnt vmcnt(0)
	v_cndmask_b32_e64 v45, 0, v36, s2
	scratch_load_b128 v[36:39], off, off offset:160
	v_lshrrev_b32_e32 v46, 8, v45
	v_lshrrev_b32_e32 v47, 16, v45
	;; [unrolled: 1-line block ×3, first 2 shown]
	v_add_nc_u16 v40, v45, v40
	s_delay_alu instid0(VALU_DEP_4) | instskip(NEXT) | instid1(VALU_DEP_4)
	v_add_nc_u16 v41, v46, v41
	v_add_nc_u16 v42, v47, v42
	s_delay_alu instid0(VALU_DEP_4) | instskip(NEXT) | instid1(VALU_DEP_4)
	v_add_nc_u16 v43, v48, v43
	v_bfe_i32 v40, v40, 0, 8
	v_add_nc_u32_e32 v48, s3, v44
	v_bfe_i32 v41, v41, 0, 8
	v_bfe_i32 v42, v42, 0, 8
	;; [unrolled: 1-line block ×3, first 2 shown]
	v_max_i16 v40, v40, 0
	scratch_load_b128 v[44:47], off, off offset:192
	v_max_i16 v41, v41, 0
	v_max_i16 v42, v42, 0
	;; [unrolled: 1-line block ×3, first 2 shown]
	v_and_b32_e32 v40, 0xffff, v40
	s_delay_alu instid0(VALU_DEP_4) | instskip(NEXT) | instid1(VALU_DEP_4)
	v_and_b32_e32 v41, 0xffff, v41
	v_and_b32_e32 v42, 0xffff, v42
	s_delay_alu instid0(VALU_DEP_4)
	v_and_b32_e32 v43, 0xffff, v43
	scratch_store_b128 off, v[40:43], off offset:176
	buffer_load_b32 v40, v48, s[16:19], 0 offen
	s_waitcnt vmcnt(2)
	v_lshlrev_b32_e32 v37, 8, v37
	v_lshlrev_b32_e32 v38, 16, v38
	;; [unrolled: 1-line block ×3, first 2 shown]
	s_delay_alu instid0(VALU_DEP_3) | instskip(NEXT) | instid1(VALU_DEP_3)
	v_perm_b32 v36, v37, v36, 0xc0c0500
	v_and_b32_e32 v37, 0xff0000, v38
	s_waitcnt vmcnt(0)
	v_cndmask_b32_e64 v49, 0, v40, s1
	scratch_load_b128 v[40:43], off, off offset:176
	v_cmp_gt_i32_e64 s1, s27, v68
	v_lshrrev_b32_e32 v50, 8, v49
	v_lshrrev_b32_e32 v51, 16, v49
	;; [unrolled: 1-line block ×3, first 2 shown]
	v_add_nc_u16 v44, v49, v44
	s_and_b32 s2, s1, s0
	v_add_nc_u16 v45, v50, v45
	v_add_nc_u16 v46, v51, v46
	;; [unrolled: 1-line block ×3, first 2 shown]
	v_bfe_i32 v44, v44, 0, 8
	v_add_nc_u32_e32 v56, s4, v48
	v_bfe_i32 v45, v45, 0, 8
	v_bfe_i32 v46, v46, 0, 8
	;; [unrolled: 1-line block ×3, first 2 shown]
	v_max_i16 v44, v44, 0
	scratch_load_b128 v[48:51], off, off offset:208
	v_max_i16 v45, v45, 0
	v_max_i16 v46, v46, 0
	;; [unrolled: 1-line block ×3, first 2 shown]
	v_and_b32_e32 v44, 0xffff, v44
	s_and_b32 s1, s1, vcc_lo
	v_and_b32_e32 v45, 0xffff, v45
	v_and_b32_e32 v46, 0xffff, v46
	;; [unrolled: 1-line block ×3, first 2 shown]
	scratch_store_b128 off, v[44:47], off offset:192
	buffer_load_b32 v44, v56, s[16:19], 0 offen
	s_waitcnt vmcnt(2)
	v_lshlrev_b32_e32 v41, 8, v41
	v_lshlrev_b32_e32 v42, 16, v42
	s_waitcnt vmcnt(0)
	v_cndmask_b32_e64 v57, 0, v44, s2
	scratch_load_b128 v[44:47], off, off offset:192
	v_lshrrev_b32_e32 v58, 8, v57
	v_lshrrev_b32_e32 v59, 16, v57
	v_lshrrev_b32_e32 v60, 24, v57
	v_add_nc_u16 v48, v57, v48
	s_delay_alu instid0(VALU_DEP_4) | instskip(NEXT) | instid1(VALU_DEP_4)
	v_add_nc_u16 v49, v58, v49
	v_add_nc_u16 v50, v59, v50
	s_delay_alu instid0(VALU_DEP_4) | instskip(NEXT) | instid1(VALU_DEP_4)
	v_add_nc_u16 v51, v60, v51
	v_bfe_i32 v48, v48, 0, 8
	v_add_nc_u32_e32 v60, s3, v56
	v_bfe_i32 v49, v49, 0, 8
	v_bfe_i32 v50, v50, 0, 8
	;; [unrolled: 1-line block ×3, first 2 shown]
	v_max_i16 v48, v48, 0
	scratch_load_b128 v[56:59], off, off offset:224
	v_max_i16 v49, v49, 0
	v_max_i16 v50, v50, 0
	;; [unrolled: 1-line block ×3, first 2 shown]
	v_and_b32_e32 v48, 0xffff, v48
	s_delay_alu instid0(VALU_DEP_4) | instskip(NEXT) | instid1(VALU_DEP_4)
	v_and_b32_e32 v49, 0xffff, v49
	v_and_b32_e32 v50, 0xffff, v50
	s_delay_alu instid0(VALU_DEP_4)
	v_and_b32_e32 v51, 0xffff, v51
	scratch_store_b128 off, v[48:51], off offset:208
	buffer_load_b32 v48, v60, s[16:19], 0 offen
	s_waitcnt vmcnt(0)
	v_cndmask_b32_e64 v61, 0, v48, s1
	scratch_load_b128 v[48:51], off, off offset:208
	v_cmp_gt_i32_e64 s1, s27, v69
	v_lshrrev_b32_e32 v62, 8, v61
	v_lshrrev_b32_e32 v63, 16, v61
	;; [unrolled: 1-line block ×3, first 2 shown]
	v_add_nc_u16 v56, v61, v56
	s_and_b32 s2, s1, s0
	v_add_nc_u16 v57, v62, v57
	v_add_nc_u16 v58, v63, v58
	v_add_nc_u16 v59, v64, v59
	v_bfe_i32 v56, v56, 0, 8
	v_add_nc_u32_e32 v64, s4, v60
	v_bfe_i32 v57, v57, 0, 8
	v_bfe_i32 v58, v58, 0, 8
	v_bfe_i32 v59, v59, 0, 8
	v_max_i16 v56, v56, 0
	s_and_b32 s1, s1, vcc_lo
	v_max_i16 v57, v57, 0
	v_max_i16 v58, v58, 0
	;; [unrolled: 1-line block ×3, first 2 shown]
	v_and_b32_e32 v56, 0xffff, v56
	s_delay_alu instid0(VALU_DEP_4) | instskip(NEXT) | instid1(VALU_DEP_4)
	v_and_b32_e32 v57, 0xffff, v57
	v_and_b32_e32 v58, 0xffff, v58
	s_delay_alu instid0(VALU_DEP_4)
	v_and_b32_e32 v59, 0xffff, v59
	scratch_store_b128 off, v[56:59], off offset:224
	buffer_load_b32 v60, v64, s[16:19], 0 offen
	scratch_load_b128 v[56:59], off, off offset:240
	s_waitcnt vmcnt(1)
	v_cndmask_b32_e64 v65, 0, v60, s2
	scratch_load_b128 v[60:63], off, off offset:224
	v_lshrrev_b32_e32 v66, 8, v65
	v_lshrrev_b32_e32 v67, 16, v65
	;; [unrolled: 1-line block ×3, first 2 shown]
	s_waitcnt vmcnt(1)
	v_add_nc_u16 v56, v65, v56
	v_add_nc_u16 v57, v66, v57
	;; [unrolled: 1-line block ×4, first 2 shown]
	s_delay_alu instid0(VALU_DEP_4)
	v_bfe_i32 v56, v56, 0, 8
	v_add_nc_u32_e32 v70, s3, v64
	v_bfe_i32 v57, v57, 0, 8
	v_bfe_i32 v58, v58, 0, 8
	;; [unrolled: 1-line block ×3, first 2 shown]
	v_max_i16 v56, v56, 0
	s_delay_alu instid0(VALU_DEP_4) | instskip(NEXT) | instid1(VALU_DEP_4)
	v_max_i16 v57, v57, 0
	v_max_i16 v58, v58, 0
	s_delay_alu instid0(VALU_DEP_4) | instskip(NEXT) | instid1(VALU_DEP_4)
	v_max_i16 v59, v59, 0
	v_and_b32_e32 v56, 0xffff, v56
	s_delay_alu instid0(VALU_DEP_4) | instskip(NEXT) | instid1(VALU_DEP_4)
	v_and_b32_e32 v57, 0xffff, v57
	v_and_b32_e32 v58, 0xffff, v58
	s_delay_alu instid0(VALU_DEP_4)
	v_and_b32_e32 v59, 0xffff, v59
	scratch_store_b128 off, v[56:59], off offset:240
	buffer_load_b32 v64, v70, s[16:19], 0 offen
	scratch_load_b128 v[56:59], off, off offset:256
	s_waitcnt vmcnt(1)
	v_cndmask_b32_e64 v71, 0, v64, s1
	scratch_load_b128 v[64:67], off, off offset:240
	s_mul_i32 s1, s56, 60
	s_delay_alu instid0(SALU_CYCLE_1)
	v_add3_u32 v70, s4, s1, v70
	v_lshrrev_b32_e32 v72, 8, v71
	v_lshrrev_b32_e32 v73, 16, v71
	;; [unrolled: 1-line block ×3, first 2 shown]
	s_waitcnt vmcnt(1)
	v_add_nc_u16 v56, v71, v56
	v_add_nc_u32_e32 v71, 64, v53
	v_add_nc_u16 v57, v72, v57
	v_add_nc_u16 v58, v73, v58
	;; [unrolled: 1-line block ×3, first 2 shown]
	v_bfe_i32 v56, v56, 0, 8
	v_cmp_gt_i32_e64 s1, s27, v71
	v_bfe_i32 v57, v57, 0, 8
	v_bfe_i32 v58, v58, 0, 8
	;; [unrolled: 1-line block ×3, first 2 shown]
	v_max_i16 v56, v56, 0
	s_and_b32 s2, s1, s0
	v_max_i16 v57, v57, 0
	v_max_i16 v58, v58, 0
	;; [unrolled: 1-line block ×3, first 2 shown]
	v_and_b32_e32 v56, 0xffff, v56
	s_and_b32 s1, s1, vcc_lo
	v_and_b32_e32 v57, 0xffff, v57
	v_and_b32_e32 v58, 0xffff, v58
	;; [unrolled: 1-line block ×3, first 2 shown]
	v_add_nc_u32_e32 v72, 0x42, v53
	v_add_nc_u32_e32 v73, 0x43, v53
	v_cmp_gt_i32_e64 s11, s24, v71
	scratch_store_b128 off, v[56:59], off offset:256
	buffer_load_b32 v56, v70, s[16:19], 0 offen
	v_cmp_gt_i32_e64 s7, s24, v72
	v_cmp_ge_i32_e64 s8, s24, v72
	v_cmp_gt_i32_e64 s5, s24, v73
	v_cmp_ge_i32_e64 s6, s24, v73
	s_waitcnt vmcnt(0)
	v_cndmask_b32_e64 v56, 0, v56, s2
	s_delay_alu instid0(VALU_DEP_1)
	v_lshrrev_b32_e32 v57, 8, v56
	v_lshrrev_b32_e32 v58, 16, v56
	;; [unrolled: 1-line block ×3, first 2 shown]
	v_add_nc_u16 v32, v56, v32
	v_add_nc_u32_e32 v56, s3, v70
	v_add_nc_u16 v33, v57, v33
	v_add_nc_u16 v34, v58, v34
	;; [unrolled: 1-line block ×3, first 2 shown]
	v_bfe_i32 v32, v32, 0, 8
	v_add_nc_u32_e32 v70, 0x41, v53
	v_bfe_i32 v33, v33, 0, 8
	v_bfe_i32 v34, v34, 0, 8
	;; [unrolled: 1-line block ×3, first 2 shown]
	v_max_i16 v32, v32, 0
	v_cmp_gt_i32_e64 s9, s24, v70
	v_max_i16 v33, v33, 0
	v_max_i16 v34, v34, 0
	;; [unrolled: 1-line block ×3, first 2 shown]
	v_and_b32_e32 v32, 0xffff, v32
	v_cmp_ge_i32_e64 s10, s24, v70
	v_and_b32_e32 v33, 0xffff, v33
	v_and_b32_e32 v34, 0xffff, v34
	;; [unrolled: 1-line block ×3, first 2 shown]
	scratch_store_b128 off, v[32:35], off offset:272
	buffer_load_b32 v32, v56, s[16:19], 0 offen
	s_waitcnt vmcnt(0)
	v_cndmask_b32_e64 v32, 0, v32, s1
	v_cmp_gt_i32_e64 s1, s27, v70
	s_delay_alu instid0(VALU_DEP_2)
	v_lshrrev_b32_e32 v33, 8, v32
	v_lshrrev_b32_e32 v34, 16, v32
	;; [unrolled: 1-line block ×3, first 2 shown]
	v_add_nc_u16 v28, v32, v28
	v_add_nc_u32_e32 v32, s4, v56
	v_add_nc_u16 v29, v33, v29
	v_add_nc_u16 v30, v34, v30
	;; [unrolled: 1-line block ×3, first 2 shown]
	v_bfe_i32 v28, v28, 0, 8
	s_and_b32 s2, s1, s0
	v_bfe_i32 v29, v29, 0, 8
	v_bfe_i32 v30, v30, 0, 8
	;; [unrolled: 1-line block ×3, first 2 shown]
	v_max_i16 v28, v28, 0
	s_and_b32 s1, s1, vcc_lo
	v_max_i16 v29, v29, 0
	v_max_i16 v30, v30, 0
	;; [unrolled: 1-line block ×3, first 2 shown]
	v_and_b32_e32 v28, 0xffff, v28
	s_delay_alu instid0(VALU_DEP_4) | instskip(NEXT) | instid1(VALU_DEP_4)
	v_and_b32_e32 v29, 0xffff, v29
	v_and_b32_e32 v30, 0xffff, v30
	s_delay_alu instid0(VALU_DEP_4) | instskip(SKIP_4) | instid1(VALU_DEP_1)
	v_and_b32_e32 v31, 0xffff, v31
	scratch_store_b128 off, v[28:31], off offset:288
	buffer_load_b32 v28, v32, s[16:19], 0 offen
	s_waitcnt vmcnt(0)
	v_cndmask_b32_e64 v28, 0, v28, s2
	v_lshrrev_b32_e32 v29, 8, v28
	v_lshrrev_b32_e32 v30, 16, v28
	;; [unrolled: 1-line block ×3, first 2 shown]
	v_add_nc_u16 v24, v28, v24
	v_add_nc_u32_e32 v28, s3, v32
	v_add_nc_u16 v25, v29, v25
	v_add_nc_u16 v26, v30, v26
	;; [unrolled: 1-line block ×3, first 2 shown]
	v_bfe_i32 v24, v24, 0, 8
	s_delay_alu instid0(VALU_DEP_4) | instskip(NEXT) | instid1(VALU_DEP_4)
	v_bfe_i32 v25, v25, 0, 8
	v_bfe_i32 v26, v26, 0, 8
	s_delay_alu instid0(VALU_DEP_4) | instskip(NEXT) | instid1(VALU_DEP_4)
	v_bfe_i32 v27, v27, 0, 8
	v_max_i16 v24, v24, 0
	s_delay_alu instid0(VALU_DEP_4) | instskip(NEXT) | instid1(VALU_DEP_4)
	v_max_i16 v25, v25, 0
	v_max_i16 v26, v26, 0
	s_delay_alu instid0(VALU_DEP_4) | instskip(NEXT) | instid1(VALU_DEP_4)
	v_max_i16 v27, v27, 0
	v_and_b32_e32 v24, 0xffff, v24
	s_delay_alu instid0(VALU_DEP_4) | instskip(NEXT) | instid1(VALU_DEP_4)
	v_and_b32_e32 v25, 0xffff, v25
	v_and_b32_e32 v26, 0xffff, v26
	s_delay_alu instid0(VALU_DEP_4)
	v_and_b32_e32 v27, 0xffff, v27
	scratch_store_b128 off, v[24:27], off offset:304
	buffer_load_b32 v24, v28, s[16:19], 0 offen
	s_waitcnt vmcnt(0)
	v_cndmask_b32_e64 v24, 0, v24, s1
	v_cmp_gt_i32_e64 s1, s27, v72
	s_delay_alu instid0(VALU_DEP_2)
	v_lshrrev_b32_e32 v25, 8, v24
	v_lshrrev_b32_e32 v26, 16, v24
	;; [unrolled: 1-line block ×3, first 2 shown]
	v_add_nc_u16 v20, v24, v20
	v_add_nc_u32_e32 v24, s4, v28
	v_add_nc_u16 v21, v25, v21
	v_add_nc_u16 v22, v26, v22
	;; [unrolled: 1-line block ×3, first 2 shown]
	v_bfe_i32 v20, v20, 0, 8
	s_and_b32 s2, s1, s0
	v_bfe_i32 v21, v21, 0, 8
	v_bfe_i32 v22, v22, 0, 8
	;; [unrolled: 1-line block ×3, first 2 shown]
	v_max_i16 v20, v20, 0
	s_and_b32 s1, s1, vcc_lo
	v_max_i16 v21, v21, 0
	v_max_i16 v22, v22, 0
	;; [unrolled: 1-line block ×3, first 2 shown]
	v_and_b32_e32 v20, 0xffff, v20
	s_delay_alu instid0(VALU_DEP_4) | instskip(NEXT) | instid1(VALU_DEP_4)
	v_and_b32_e32 v21, 0xffff, v21
	v_and_b32_e32 v22, 0xffff, v22
	s_delay_alu instid0(VALU_DEP_4)
	v_and_b32_e32 v23, 0xffff, v23
	scratch_store_b128 off, v[20:23], off offset:320
	buffer_load_b32 v20, v24, s[16:19], 0 offen
	s_waitcnt vmcnt(0)
	v_cndmask_b32_e64 v20, 0, v20, s2
	v_cmp_gt_i32_e64 s2, s24, v55
	s_delay_alu instid0(VALU_DEP_2)
	v_lshrrev_b32_e32 v21, 8, v20
	v_lshrrev_b32_e32 v22, 16, v20
	;; [unrolled: 1-line block ×3, first 2 shown]
	v_add_nc_u16 v16, v20, v16
	v_add_nc_u32_e32 v20, s3, v24
	v_add_nc_u16 v17, v21, v17
	v_add_nc_u16 v18, v22, v18
	;; [unrolled: 1-line block ×3, first 2 shown]
	v_bfe_i32 v16, v16, 0, 8
	s_delay_alu instid0(VALU_DEP_4) | instskip(NEXT) | instid1(VALU_DEP_4)
	v_bfe_i32 v17, v17, 0, 8
	v_bfe_i32 v18, v18, 0, 8
	s_delay_alu instid0(VALU_DEP_4) | instskip(NEXT) | instid1(VALU_DEP_4)
	v_bfe_i32 v19, v19, 0, 8
	v_max_i16 v16, v16, 0
	s_delay_alu instid0(VALU_DEP_4) | instskip(NEXT) | instid1(VALU_DEP_4)
	v_max_i16 v17, v17, 0
	v_max_i16 v18, v18, 0
	s_delay_alu instid0(VALU_DEP_4) | instskip(NEXT) | instid1(VALU_DEP_4)
	v_max_i16 v19, v19, 0
	v_and_b32_e32 v16, 0xffff, v16
	s_delay_alu instid0(VALU_DEP_4) | instskip(NEXT) | instid1(VALU_DEP_4)
	v_and_b32_e32 v17, 0xffff, v17
	v_and_b32_e32 v18, 0xffff, v18
	s_delay_alu instid0(VALU_DEP_4)
	v_and_b32_e32 v19, 0xffff, v19
	scratch_store_b128 off, v[16:19], off offset:336
	buffer_load_b32 v16, v20, s[16:19], 0 offen
	s_waitcnt vmcnt(0)
	v_cndmask_b32_e64 v16, 0, v16, s1
	v_cmp_gt_i32_e64 s1, s27, v73
	s_delay_alu instid0(VALU_DEP_2)
	v_lshrrev_b32_e32 v17, 8, v16
	v_lshrrev_b32_e32 v18, 16, v16
	;; [unrolled: 1-line block ×3, first 2 shown]
	v_add_nc_u16 v12, v16, v12
	v_add_nc_u32_e32 v16, s4, v20
	v_add_nc_u16 v13, v17, v13
	v_add_nc_u16 v14, v18, v14
	;; [unrolled: 1-line block ×3, first 2 shown]
	v_bfe_i32 v12, v12, 0, 8
	s_and_b32 s0, s1, s0
	v_bfe_i32 v13, v13, 0, 8
	v_bfe_i32 v14, v14, 0, 8
	;; [unrolled: 1-line block ×3, first 2 shown]
	v_max_i16 v12, v12, 0
	s_and_b32 vcc_lo, s1, vcc_lo
	v_max_i16 v13, v13, 0
	v_max_i16 v14, v14, 0
	;; [unrolled: 1-line block ×3, first 2 shown]
	v_and_b32_e32 v12, 0xffff, v12
	v_cmp_gt_i32_e64 s4, s24, v69
	v_and_b32_e32 v13, 0xffff, v13
	v_and_b32_e32 v14, 0xffff, v14
	;; [unrolled: 1-line block ×3, first 2 shown]
	scratch_store_b128 off, v[12:15], off offset:352
	buffer_load_b32 v12, v16, s[16:19], 0 offen
	s_waitcnt vmcnt(0)
	v_cndmask_b32_e64 v12, 0, v12, s0
	v_cmp_gt_i32_e64 s0, s24, v53
	v_mul_lo_u32 v53, v53, s34
	s_delay_alu instid0(VALU_DEP_3)
	v_lshrrev_b32_e32 v13, 8, v12
	v_lshrrev_b32_e32 v14, 16, v12
	;; [unrolled: 1-line block ×3, first 2 shown]
	v_add_nc_u16 v8, v12, v8
	v_add_nc_u32_e32 v12, s3, v16
	v_add_nc_u16 v9, v13, v9
	v_add_nc_u16 v10, v14, v10
	;; [unrolled: 1-line block ×3, first 2 shown]
	v_bfe_i32 v8, v8, 0, 8
	v_cmp_gt_i32_e64 s3, s24, v68
	v_bfe_i32 v9, v9, 0, 8
	v_bfe_i32 v10, v10, 0, 8
	v_bfe_i32 v11, v11, 0, 8
	v_max_i16 v8, v8, 0
	v_mad_u64_u32 v[68:69], null, v52, s35, v[53:54]
	v_max_i16 v9, v9, 0
	v_max_i16 v10, v10, 0
	;; [unrolled: 1-line block ×3, first 2 shown]
	v_and_b32_e32 v8, 0xffff, v8
	v_lshlrev_b32_e32 v54, 16, v54
	v_and_b32_e32 v9, 0xffff, v9
	v_and_b32_e32 v10, 0xffff, v10
	;; [unrolled: 1-line block ×3, first 2 shown]
	v_add_nc_u32_e32 v88, s34, v68
	v_lshl_or_b32 v1, v1, 8, v54
	scratch_store_b128 off, v[8:11], off offset:368
	buffer_load_b32 v20, v12, s[16:19], 0 offen
	s_clause 0x2
	scratch_load_b128 v[8:11], off, off offset:256
	scratch_load_b128 v[12:15], off, off offset:272
	;; [unrolled: 1-line block ×3, first 2 shown]
	s_lshl_b32 s16, s35, 6
	s_add_i32 s18, s35, s34
	s_lshl_b32 s17, s34, 6
	s_waitcnt vmcnt(2)
	v_dual_cndmask_b32 v24, 0, v20 :: v_dual_lshlrev_b32 v9, 8, v9
	scratch_load_b128 v[20:23], off, off offset:288
	v_cmp_gt_i32_e32 vcc_lo, s33, v52
	v_add_nc_u32_e32 v52, s16, v68
	v_lshlrev_b32_e32 v10, 16, v10
	v_lshrrev_b32_e32 v25, 8, v24
	v_lshrrev_b32_e32 v28, 16, v24
	;; [unrolled: 1-line block ×3, first 2 shown]
	v_add_nc_u16 v4, v24, v4
	v_add_nc_u32_e32 v69, s34, v52
	v_add_nc_u16 v5, v25, v5
	v_add_nc_u16 v6, v28, v6
	scratch_load_b128 v[28:31], off, off offset:320
	v_add_nc_u16 v7, v32, v7
	v_bfe_i32 v4, v4, 0, 8
	v_bfe_i32 v5, v5, 0, 8
	;; [unrolled: 1-line block ×3, first 2 shown]
	scratch_load_b128 v[24:27], off, off offset:336
	v_bfe_i32 v32, v7, 0, 8
	v_max_i16 v56, v4, 0
	v_max_i16 v57, v5, 0
	;; [unrolled: 1-line block ×3, first 2 shown]
	scratch_load_b128 v[4:7], off, off offset:368
	v_max_i16 v59, v32, 0
	v_and_b32_e32 v56, 0xffff, v56
	v_and_b32_e32 v57, 0xffff, v57
	;; [unrolled: 1-line block ×3, first 2 shown]
	scratch_load_b128 v[32:35], off, off offset:352
	v_and_b32_e32 v59, 0xffff, v59
	s_and_b32 s1, s0, vcc_lo
	v_add_nc_u32_e32 v72, s34, v69
	v_cndmask_b32_e64 v74, 0x80000000, 0, s1
	v_cmp_gt_i32_e64 s1, s33, v2
	scratch_store_b128 off, v[56:59], off offset:384
	scratch_load_b128 v[56:59], off, off offset:384
	v_add_nc_u32_e32 v76, s34, v72
	v_lshlrev_b32_e32 v11, 24, v11
	s_and_b32 s0, s0, s1
	v_perm_b32 v8, v9, v8, 0xc0c0500
	v_cndmask_b32_e64 v2, 0x80000000, 0, s0
	s_and_b32 s0, s2, s1
	v_subrev_nc_u32_e32 v79, s16, v76
	v_and_b32_e32 v9, 0xff0000, v10
	s_waitcnt vmcnt(7)
	v_lshlrev_b32_e32 v13, 8, v13
	v_lshlrev_b32_e32 v14, 16, v14
	v_cndmask_b32_e64 v53, 0x80000000, 0, s0
	s_and_b32 s0, s2, vcc_lo
	v_lshl_add_u32 v82, s18, 6, v79
	v_cndmask_b32_e64 v55, 0x80000000, 0, s0
	s_and_b32 s0, s3, vcc_lo
	v_or3_b32 v8, v8, v9, v11
	v_cndmask_b32_e64 v70, 0x80000000, 0, s0
	s_and_b32 s0, s3, s1
	v_perm_b32 v11, v13, v12, 0xc0c0500
	v_and_b32_e32 v12, 0xff0000, v14
	s_waitcnt vmcnt(6)
	v_lshlrev_b32_e32 v13, 8, v17
	v_lshlrev_b32_e32 v14, 16, v18
	v_cndmask_b32_e64 v71, 0x80000000, 0, s0
	s_and_b32 s0, s4, s1
	v_lshlrev_b32_e32 v3, 24, v3
	v_cndmask_b32_e64 v73, 0x80000000, 0, s0
	s_and_b32 s0, s4, vcc_lo
	v_subrev_nc_u32_e32 v85, s34, v82
	v_lshlrev_b32_e32 v9, 24, v15
	v_lshlrev_b32_e32 v15, 24, v19
	v_perm_b32 v13, v13, v16, 0xc0c0500
	v_and_b32_e32 v14, 0xff0000, v14
	v_cndmask_b32_e64 v75, 0x80000000, 0, s0
	s_and_b32 s0, s5, vcc_lo
	v_or3_b32 v0, v3, v1, v0
	v_or3_b32 v1, v36, v37, v39
	v_lshlrev_b32_e32 v3, 24, v43
	v_perm_b32 v36, v41, v40, 0xc0c0500
	v_and_b32_e32 v37, 0xff0000, v42
	v_lshlrev_b32_e32 v39, 8, v45
	v_lshlrev_b32_e32 v40, 16, v46
	;; [unrolled: 1-line block ×4, first 2 shown]
	v_cndmask_b32_e64 v77, 0x80000000, 0, s0
	s_and_b32 s0, s5, s1
	v_subrev_nc_u32_e32 v89, s16, v85
	v_cndmask_b32_e64 v78, 0x80000000, 0, s0
	s_and_b32 s0, s6, s1
	v_or3_b32 v13, v13, v14, v15
	v_cndmask_b32_e64 v80, 0x80000000, 0, s0
	s_and_b32 s0, s7, vcc_lo
	v_lshlrev_b32_e32 v41, 24, v47
	v_perm_b32 v39, v39, v44, 0xc0c0500
	v_and_b32_e32 v40, 0xff0000, v40
	v_lshlrev_b32_e32 v44, 24, v51
	v_perm_b32 v42, v42, v48, 0xc0c0500
	v_and_b32_e32 v43, 0xff0000, v43
	v_cndmask_b32_e64 v81, 0x80000000, 0, s0
	s_and_b32 s0, s8, vcc_lo
	v_add_nc_u32_e32 v2, v2, v52
	v_add_nc_u32_e32 v52, v88, v55
	v_subrev_nc_u32_e32 v55, s34, v89
	v_or3_b32 v3, v36, v37, v3
	v_lshlrev_b32_e32 v36, 8, v61
	v_lshlrev_b32_e32 v37, 16, v62
	v_or3_b32 v9, v11, v12, v9
	v_cndmask_b32_e64 v83, 0x80000000, 0, s0
	s_and_b32 s0, s9, s1
	v_or3_b32 v39, v39, v40, v41
	v_or3_b32 v40, v42, v43, v44
	v_lshlrev_b32_e32 v42, 8, v65
	v_lshlrev_b32_e32 v43, 16, v66
	v_cndmask_b32_e64 v84, 0x80000000, 0, s0
	s_and_b32 s0, s11, vcc_lo
	v_add_nc_u32_e32 v68, v74, v68
	v_cndmask_b32_e64 v86, 0x80000000, 0, s0
	v_add_nc_u32_e32 v53, v53, v69
	v_add_nc_u32_e32 v69, v72, v71
	v_add_nc_u32_e32 v72, s16, v55
	v_lshlrev_b32_e32 v41, 24, v63
	v_perm_b32 v36, v36, v60, 0xc0c0500
	v_and_b32_e32 v37, 0xff0000, v37
	v_lshlrev_b32_e32 v44, 24, v67
	v_perm_b32 v42, v42, v64, 0xc0c0500
	v_and_b32_e32 v43, 0xff0000, v43
	s_and_b32 s0, s10, s1
	buffer_store_b32 v0, v68, s[12:15], 0 offen
	v_cndmask_b32_e64 v87, 0x80000000, 0, s0
	v_subrev_nc_u32_e32 v86, s16, v86
	v_add3_u32 v74, v77, s17, v79
	v_subrev_nc_u32_e32 v77, s34, v72
	v_or3_b32 v10, v36, v37, v41
	v_add_nc_u32_e32 v71, v76, v73
	v_add_nc_u32_e32 v73, v79, v75
	v_or3_b32 v36, v42, v43, v44
	v_add3_u32 v70, v70, s34, v88
	v_add_nc_u32_e32 v75, v82, v78
	v_add_nc_u32_e32 v76, v85, v80
	;; [unrolled: 1-line block ×7, first 2 shown]
	s_clause 0x3
	buffer_store_b32 v1, v2, s[12:15], 0 offen
	buffer_store_b32 v39, v53, s[12:15], 0 offen
	;; [unrolled: 1-line block ×4, first 2 shown]
	s_waitcnt vmcnt(5)
	v_lshlrev_b32_e32 v17, 8, v21
	v_lshlrev_b32_e32 v18, 16, v22
	;; [unrolled: 1-line block ×3, first 2 shown]
	s_delay_alu instid0(VALU_DEP_3) | instskip(NEXT) | instid1(VALU_DEP_3)
	v_perm_b32 v12, v17, v20, 0xc0c0500
	v_and_b32_e32 v16, 0xff0000, v18
	s_waitcnt vmcnt(4)
	v_lshlrev_b32_e32 v18, 8, v29
	v_lshlrev_b32_e32 v19, 16, v30
	s_delay_alu instid0(VALU_DEP_3)
	v_or3_b32 v11, v12, v16, v11
	v_lshlrev_b32_e32 v12, 24, v31
	s_waitcnt vmcnt(3)
	v_lshlrev_b32_e32 v14, 8, v25
	v_lshlrev_b32_e32 v15, 16, v26
	;; [unrolled: 1-line block ×3, first 2 shown]
	v_perm_b32 v16, v18, v28, 0xc0c0500
	v_and_b32_e32 v18, 0xff0000, v19
	s_waitcnt vmcnt(2)
	v_lshlrev_b32_e32 v5, 8, v5
	v_lshlrev_b32_e32 v6, 16, v6
	;; [unrolled: 1-line block ×3, first 2 shown]
	v_perm_b32 v14, v14, v24, 0xc0c0500
	v_and_b32_e32 v15, 0xff0000, v15
	v_perm_b32 v4, v5, v4, 0xc0c0500
	v_and_b32_e32 v5, 0xff0000, v6
	s_waitcnt vmcnt(1)
	v_lshlrev_b32_e32 v6, 24, v35
	v_or3_b32 v12, v16, v18, v12
	v_or3_b32 v14, v14, v15, v17
	v_lshlrev_b32_e32 v15, 8, v33
	v_or3_b32 v4, v4, v5, v7
	s_waitcnt vmcnt(0)
	v_lshlrev_b32_e32 v5, 8, v57
	v_lshlrev_b32_e32 v7, 16, v58
	;; [unrolled: 1-line block ×4, first 2 shown]
	v_perm_b32 v15, v15, v32, 0xc0c0500
	v_perm_b32 v5, v5, v56, 0xc0c0500
	v_and_b32_e32 v7, 0xff0000, v7
	v_and_b32_e32 v17, 0xff0000, v17
	s_delay_alu instid0(VALU_DEP_2) | instskip(NEXT) | instid1(VALU_DEP_2)
	v_or3_b32 v0, v5, v7, v0
	v_or3_b32 v6, v15, v17, v6
	s_clause 0xa
	buffer_store_b32 v10, v69, s[12:15], 0 offen
	buffer_store_b32 v8, v71, s[12:15], 0 offen
	;; [unrolled: 1-line block ×11, first 2 shown]
	s_endpgm
	.section	.rodata,"a",@progbits
	.p2align	6, 0x0
	.amdhsa_kernel _ZN2ck16tensor_operation6device12_GLOBAL__N_137kernel_grouped_conv_fwd_dl_multiple_dINS_32GridwiseGemmDlMultipleD_km_kn_mnILi256EaiNS_5TupleIJaEEEaNS0_12element_wise11PassThroughES8_NS7_7AddReluELNS_25InMemoryDataOperationEnumE0ENS_16TensorDescriptorINS5_IJNS_5EmbedINS5_IJiiiEEESD_Lb0EEENS_11PassThroughIiEENS_3PadIiiiLb0EEESG_SG_NSC_INS5_IJiiEEESJ_Lb0EEESG_NS_23Merge_v2_magic_divisionISJ_EESM_NS_8RightPadIiiLb0EEESO_NS_7UnMergeISJ_Lb0EEESG_EEENS5_IJNS_8SequenceIJLi0EEEENSS_IJLi1EEEENSS_IJLi2EEEENSS_IJLi3EEEENSS_IJLi4EEEENSS_IJLi5EEEENSS_IJLi6EEEENSS_IJLi7ELi9EEEENSS_IJLi8ELi10EEEENSS_IJLi11EEEENSS_IJLi12EEEENSS_IJLi14EEEENSS_IJLi13EEEEEEENS5_IJNSS_IJLi1ELi2ELi3EEEESX_SY_SZ_NSS_IJLi7EEEENSS_IJLi8ELi9EEEENSS_IJLi10EEEES12_S13_S15_S14_NSS_IJLi15ELi16EEEENSS_IJLi17EEEEEEENSS_IJLi15ELi17ELi16EEEElEENSB_INS5_IJSQ_SO_SO_SQ_SG_EEENS5_IJST_SU_SV_SX_SW_EEENS5_IJNSS_IJLi1ELi2EEEESW_SX_NSS_IJLi5ELi6EEEES18_EEENSS_IJLi5ELi7ELi6EEEElEENSB_INS5_IJSK_SO_SO_EEENS5_IJST_SU_SV_EEENS5_IJS1I_SW_SX_EEENSS_IJLi3ELi4EEEElEELi128ELi128ELi16ELi4ELi4ELi4ELi1ENSS_IJLi8ELi2EEEES1S_NSS_IJLi8ELi1ELi1ELi4EEEENSS_IJLi2ELi1ELi128ELi1EEEENSS_IJLi1ELi2ELi0ELi3EEEES1V_NSS_IJLi4ELi1ELi1ELi4EEEES1V_NSS_IJLi1ELi1ELi1ELi4EEEES1T_S1U_S1V_S1V_S1W_S1V_S1X_NSS_IJLi0ELi1ELi2ELi3ELi4ELi5EEEELi5ELi4EEEaNS5_IJPKaEEEaS8_S8_S9_NSB_INS5_IJSE_SG_SI_SG_SG_SK_SG_SM_SM_SO_SO_SQ_SG_SG_NSP_INS5_IJiNS_17integral_constantIiLi128EEEEEELb0EEENSF_INS23_IiLi4EEEEEEEENS5_IJST_SU_SV_SW_SX_SY_SZ_S10_S11_S12_S13_S14_S15_NSS_IJLi15EEEES1C_NSS_IJLi16EEEEEEENS5_IJS17_SX_SY_SZ_S18_S19_S1A_S12_S13_S15_S14_S1B_S1C_NSS_IJLi18EEEENSS_IJLi19ELi20EEEENSS_IJLi21EEEEEEENSS_IJLi18ELi19ELi20ELi21EEEElEENSB_INS5_IJSQ_SO_SO_SQ_SG_SG_S26_S28_EEENS5_IJST_SU_SV_SX_SW_SY_S18_SZ_EEENS5_IJS1I_SW_SX_S1J_S18_NSS_IJLi8EEEENSS_IJLi9ELi10EEEES12_EEENSS_IJLi8ELi9ELi10ELi11EEEElEENS5_IJNSB_INS5_IJSK_SO_SO_NSP_INS5_IJiNS23_IiLi2EEENS23_IiLi64EEEEEELb0EEES2T_EEENS5_IJST_SU_SV_SW_SX_EEENS5_IJS1I_SW_SX_NSS_IJLi5ELi6ELi7EEEENSS_IJLi8ELi9ELi10EEEEEEENSS_IJLi5ELi6ELi7ELi8ELi9ELi10EEEElEEEEES30_NS_31BlockToCTileMap_M00_N00_M01_N01ILi128ELi128ES1R_Lb0EEENS1_30ComputePtrOffsetOfStridedBatchILi1ELi1ELi1EvEELb1ELb0EEEvPKT0_S38_T1_PT2_T3_T4_T5_iT6_T7_T8_T9_T10_T11_
		.amdhsa_group_segment_fixed_size 32768
		.amdhsa_private_segment_fixed_size 480
		.amdhsa_kernarg_size 904
		.amdhsa_user_sgpr_count 15
		.amdhsa_user_sgpr_dispatch_ptr 0
		.amdhsa_user_sgpr_queue_ptr 0
		.amdhsa_user_sgpr_kernarg_segment_ptr 1
		.amdhsa_user_sgpr_dispatch_id 0
		.amdhsa_user_sgpr_private_segment_size 0
		.amdhsa_wavefront_size32 1
		.amdhsa_uses_dynamic_stack 0
		.amdhsa_enable_private_segment 1
		.amdhsa_system_sgpr_workgroup_id_x 1
		.amdhsa_system_sgpr_workgroup_id_y 0
		.amdhsa_system_sgpr_workgroup_id_z 0
		.amdhsa_system_sgpr_workgroup_info 0
		.amdhsa_system_vgpr_workitem_id 0
		.amdhsa_next_free_vgpr 112
		.amdhsa_next_free_sgpr 78
		.amdhsa_reserve_vcc 1
		.amdhsa_float_round_mode_32 0
		.amdhsa_float_round_mode_16_64 0
		.amdhsa_float_denorm_mode_32 3
		.amdhsa_float_denorm_mode_16_64 3
		.amdhsa_dx10_clamp 1
		.amdhsa_ieee_mode 1
		.amdhsa_fp16_overflow 0
		.amdhsa_workgroup_processor_mode 1
		.amdhsa_memory_ordered 1
		.amdhsa_forward_progress 0
		.amdhsa_shared_vgpr_count 0
		.amdhsa_exception_fp_ieee_invalid_op 0
		.amdhsa_exception_fp_denorm_src 0
		.amdhsa_exception_fp_ieee_div_zero 0
		.amdhsa_exception_fp_ieee_overflow 0
		.amdhsa_exception_fp_ieee_underflow 0
		.amdhsa_exception_fp_ieee_inexact 0
		.amdhsa_exception_int_div_zero 0
	.end_amdhsa_kernel
	.section	.text._ZN2ck16tensor_operation6device12_GLOBAL__N_137kernel_grouped_conv_fwd_dl_multiple_dINS_32GridwiseGemmDlMultipleD_km_kn_mnILi256EaiNS_5TupleIJaEEEaNS0_12element_wise11PassThroughES8_NS7_7AddReluELNS_25InMemoryDataOperationEnumE0ENS_16TensorDescriptorINS5_IJNS_5EmbedINS5_IJiiiEEESD_Lb0EEENS_11PassThroughIiEENS_3PadIiiiLb0EEESG_SG_NSC_INS5_IJiiEEESJ_Lb0EEESG_NS_23Merge_v2_magic_divisionISJ_EESM_NS_8RightPadIiiLb0EEESO_NS_7UnMergeISJ_Lb0EEESG_EEENS5_IJNS_8SequenceIJLi0EEEENSS_IJLi1EEEENSS_IJLi2EEEENSS_IJLi3EEEENSS_IJLi4EEEENSS_IJLi5EEEENSS_IJLi6EEEENSS_IJLi7ELi9EEEENSS_IJLi8ELi10EEEENSS_IJLi11EEEENSS_IJLi12EEEENSS_IJLi14EEEENSS_IJLi13EEEEEEENS5_IJNSS_IJLi1ELi2ELi3EEEESX_SY_SZ_NSS_IJLi7EEEENSS_IJLi8ELi9EEEENSS_IJLi10EEEES12_S13_S15_S14_NSS_IJLi15ELi16EEEENSS_IJLi17EEEEEEENSS_IJLi15ELi17ELi16EEEElEENSB_INS5_IJSQ_SO_SO_SQ_SG_EEENS5_IJST_SU_SV_SX_SW_EEENS5_IJNSS_IJLi1ELi2EEEESW_SX_NSS_IJLi5ELi6EEEES18_EEENSS_IJLi5ELi7ELi6EEEElEENSB_INS5_IJSK_SO_SO_EEENS5_IJST_SU_SV_EEENS5_IJS1I_SW_SX_EEENSS_IJLi3ELi4EEEElEELi128ELi128ELi16ELi4ELi4ELi4ELi1ENSS_IJLi8ELi2EEEES1S_NSS_IJLi8ELi1ELi1ELi4EEEENSS_IJLi2ELi1ELi128ELi1EEEENSS_IJLi1ELi2ELi0ELi3EEEES1V_NSS_IJLi4ELi1ELi1ELi4EEEES1V_NSS_IJLi1ELi1ELi1ELi4EEEES1T_S1U_S1V_S1V_S1W_S1V_S1X_NSS_IJLi0ELi1ELi2ELi3ELi4ELi5EEEELi5ELi4EEEaNS5_IJPKaEEEaS8_S8_S9_NSB_INS5_IJSE_SG_SI_SG_SG_SK_SG_SM_SM_SO_SO_SQ_SG_SG_NSP_INS5_IJiNS_17integral_constantIiLi128EEEEEELb0EEENSF_INS23_IiLi4EEEEEEEENS5_IJST_SU_SV_SW_SX_SY_SZ_S10_S11_S12_S13_S14_S15_NSS_IJLi15EEEES1C_NSS_IJLi16EEEEEEENS5_IJS17_SX_SY_SZ_S18_S19_S1A_S12_S13_S15_S14_S1B_S1C_NSS_IJLi18EEEENSS_IJLi19ELi20EEEENSS_IJLi21EEEEEEENSS_IJLi18ELi19ELi20ELi21EEEElEENSB_INS5_IJSQ_SO_SO_SQ_SG_SG_S26_S28_EEENS5_IJST_SU_SV_SX_SW_SY_S18_SZ_EEENS5_IJS1I_SW_SX_S1J_S18_NSS_IJLi8EEEENSS_IJLi9ELi10EEEES12_EEENSS_IJLi8ELi9ELi10ELi11EEEElEENS5_IJNSB_INS5_IJSK_SO_SO_NSP_INS5_IJiNS23_IiLi2EEENS23_IiLi64EEEEEELb0EEES2T_EEENS5_IJST_SU_SV_SW_SX_EEENS5_IJS1I_SW_SX_NSS_IJLi5ELi6ELi7EEEENSS_IJLi8ELi9ELi10EEEEEEENSS_IJLi5ELi6ELi7ELi8ELi9ELi10EEEElEEEEES30_NS_31BlockToCTileMap_M00_N00_M01_N01ILi128ELi128ES1R_Lb0EEENS1_30ComputePtrOffsetOfStridedBatchILi1ELi1ELi1EvEELb1ELb0EEEvPKT0_S38_T1_PT2_T3_T4_T5_iT6_T7_T8_T9_T10_T11_,"axG",@progbits,_ZN2ck16tensor_operation6device12_GLOBAL__N_137kernel_grouped_conv_fwd_dl_multiple_dINS_32GridwiseGemmDlMultipleD_km_kn_mnILi256EaiNS_5TupleIJaEEEaNS0_12element_wise11PassThroughES8_NS7_7AddReluELNS_25InMemoryDataOperationEnumE0ENS_16TensorDescriptorINS5_IJNS_5EmbedINS5_IJiiiEEESD_Lb0EEENS_11PassThroughIiEENS_3PadIiiiLb0EEESG_SG_NSC_INS5_IJiiEEESJ_Lb0EEESG_NS_23Merge_v2_magic_divisionISJ_EESM_NS_8RightPadIiiLb0EEESO_NS_7UnMergeISJ_Lb0EEESG_EEENS5_IJNS_8SequenceIJLi0EEEENSS_IJLi1EEEENSS_IJLi2EEEENSS_IJLi3EEEENSS_IJLi4EEEENSS_IJLi5EEEENSS_IJLi6EEEENSS_IJLi7ELi9EEEENSS_IJLi8ELi10EEEENSS_IJLi11EEEENSS_IJLi12EEEENSS_IJLi14EEEENSS_IJLi13EEEEEEENS5_IJNSS_IJLi1ELi2ELi3EEEESX_SY_SZ_NSS_IJLi7EEEENSS_IJLi8ELi9EEEENSS_IJLi10EEEES12_S13_S15_S14_NSS_IJLi15ELi16EEEENSS_IJLi17EEEEEEENSS_IJLi15ELi17ELi16EEEElEENSB_INS5_IJSQ_SO_SO_SQ_SG_EEENS5_IJST_SU_SV_SX_SW_EEENS5_IJNSS_IJLi1ELi2EEEESW_SX_NSS_IJLi5ELi6EEEES18_EEENSS_IJLi5ELi7ELi6EEEElEENSB_INS5_IJSK_SO_SO_EEENS5_IJST_SU_SV_EEENS5_IJS1I_SW_SX_EEENSS_IJLi3ELi4EEEElEELi128ELi128ELi16ELi4ELi4ELi4ELi1ENSS_IJLi8ELi2EEEES1S_NSS_IJLi8ELi1ELi1ELi4EEEENSS_IJLi2ELi1ELi128ELi1EEEENSS_IJLi1ELi2ELi0ELi3EEEES1V_NSS_IJLi4ELi1ELi1ELi4EEEES1V_NSS_IJLi1ELi1ELi1ELi4EEEES1T_S1U_S1V_S1V_S1W_S1V_S1X_NSS_IJLi0ELi1ELi2ELi3ELi4ELi5EEEELi5ELi4EEEaNS5_IJPKaEEEaS8_S8_S9_NSB_INS5_IJSE_SG_SI_SG_SG_SK_SG_SM_SM_SO_SO_SQ_SG_SG_NSP_INS5_IJiNS_17integral_constantIiLi128EEEEEELb0EEENSF_INS23_IiLi4EEEEEEEENS5_IJST_SU_SV_SW_SX_SY_SZ_S10_S11_S12_S13_S14_S15_NSS_IJLi15EEEES1C_NSS_IJLi16EEEEEEENS5_IJS17_SX_SY_SZ_S18_S19_S1A_S12_S13_S15_S14_S1B_S1C_NSS_IJLi18EEEENSS_IJLi19ELi20EEEENSS_IJLi21EEEEEEENSS_IJLi18ELi19ELi20ELi21EEEElEENSB_INS5_IJSQ_SO_SO_SQ_SG_SG_S26_S28_EEENS5_IJST_SU_SV_SX_SW_SY_S18_SZ_EEENS5_IJS1I_SW_SX_S1J_S18_NSS_IJLi8EEEENSS_IJLi9ELi10EEEES12_EEENSS_IJLi8ELi9ELi10ELi11EEEElEENS5_IJNSB_INS5_IJSK_SO_SO_NSP_INS5_IJiNS23_IiLi2EEENS23_IiLi64EEEEEELb0EEES2T_EEENS5_IJST_SU_SV_SW_SX_EEENS5_IJS1I_SW_SX_NSS_IJLi5ELi6ELi7EEEENSS_IJLi8ELi9ELi10EEEEEEENSS_IJLi5ELi6ELi7ELi8ELi9ELi10EEEElEEEEES30_NS_31BlockToCTileMap_M00_N00_M01_N01ILi128ELi128ES1R_Lb0EEENS1_30ComputePtrOffsetOfStridedBatchILi1ELi1ELi1EvEELb1ELb0EEEvPKT0_S38_T1_PT2_T3_T4_T5_iT6_T7_T8_T9_T10_T11_,comdat
.Lfunc_end3:
	.size	_ZN2ck16tensor_operation6device12_GLOBAL__N_137kernel_grouped_conv_fwd_dl_multiple_dINS_32GridwiseGemmDlMultipleD_km_kn_mnILi256EaiNS_5TupleIJaEEEaNS0_12element_wise11PassThroughES8_NS7_7AddReluELNS_25InMemoryDataOperationEnumE0ENS_16TensorDescriptorINS5_IJNS_5EmbedINS5_IJiiiEEESD_Lb0EEENS_11PassThroughIiEENS_3PadIiiiLb0EEESG_SG_NSC_INS5_IJiiEEESJ_Lb0EEESG_NS_23Merge_v2_magic_divisionISJ_EESM_NS_8RightPadIiiLb0EEESO_NS_7UnMergeISJ_Lb0EEESG_EEENS5_IJNS_8SequenceIJLi0EEEENSS_IJLi1EEEENSS_IJLi2EEEENSS_IJLi3EEEENSS_IJLi4EEEENSS_IJLi5EEEENSS_IJLi6EEEENSS_IJLi7ELi9EEEENSS_IJLi8ELi10EEEENSS_IJLi11EEEENSS_IJLi12EEEENSS_IJLi14EEEENSS_IJLi13EEEEEEENS5_IJNSS_IJLi1ELi2ELi3EEEESX_SY_SZ_NSS_IJLi7EEEENSS_IJLi8ELi9EEEENSS_IJLi10EEEES12_S13_S15_S14_NSS_IJLi15ELi16EEEENSS_IJLi17EEEEEEENSS_IJLi15ELi17ELi16EEEElEENSB_INS5_IJSQ_SO_SO_SQ_SG_EEENS5_IJST_SU_SV_SX_SW_EEENS5_IJNSS_IJLi1ELi2EEEESW_SX_NSS_IJLi5ELi6EEEES18_EEENSS_IJLi5ELi7ELi6EEEElEENSB_INS5_IJSK_SO_SO_EEENS5_IJST_SU_SV_EEENS5_IJS1I_SW_SX_EEENSS_IJLi3ELi4EEEElEELi128ELi128ELi16ELi4ELi4ELi4ELi1ENSS_IJLi8ELi2EEEES1S_NSS_IJLi8ELi1ELi1ELi4EEEENSS_IJLi2ELi1ELi128ELi1EEEENSS_IJLi1ELi2ELi0ELi3EEEES1V_NSS_IJLi4ELi1ELi1ELi4EEEES1V_NSS_IJLi1ELi1ELi1ELi4EEEES1T_S1U_S1V_S1V_S1W_S1V_S1X_NSS_IJLi0ELi1ELi2ELi3ELi4ELi5EEEELi5ELi4EEEaNS5_IJPKaEEEaS8_S8_S9_NSB_INS5_IJSE_SG_SI_SG_SG_SK_SG_SM_SM_SO_SO_SQ_SG_SG_NSP_INS5_IJiNS_17integral_constantIiLi128EEEEEELb0EEENSF_INS23_IiLi4EEEEEEEENS5_IJST_SU_SV_SW_SX_SY_SZ_S10_S11_S12_S13_S14_S15_NSS_IJLi15EEEES1C_NSS_IJLi16EEEEEEENS5_IJS17_SX_SY_SZ_S18_S19_S1A_S12_S13_S15_S14_S1B_S1C_NSS_IJLi18EEEENSS_IJLi19ELi20EEEENSS_IJLi21EEEEEEENSS_IJLi18ELi19ELi20ELi21EEEElEENSB_INS5_IJSQ_SO_SO_SQ_SG_SG_S26_S28_EEENS5_IJST_SU_SV_SX_SW_SY_S18_SZ_EEENS5_IJS1I_SW_SX_S1J_S18_NSS_IJLi8EEEENSS_IJLi9ELi10EEEES12_EEENSS_IJLi8ELi9ELi10ELi11EEEElEENS5_IJNSB_INS5_IJSK_SO_SO_NSP_INS5_IJiNS23_IiLi2EEENS23_IiLi64EEEEEELb0EEES2T_EEENS5_IJST_SU_SV_SW_SX_EEENS5_IJS1I_SW_SX_NSS_IJLi5ELi6ELi7EEEENSS_IJLi8ELi9ELi10EEEEEEENSS_IJLi5ELi6ELi7ELi8ELi9ELi10EEEElEEEEES30_NS_31BlockToCTileMap_M00_N00_M01_N01ILi128ELi128ES1R_Lb0EEENS1_30ComputePtrOffsetOfStridedBatchILi1ELi1ELi1EvEELb1ELb0EEEvPKT0_S38_T1_PT2_T3_T4_T5_iT6_T7_T8_T9_T10_T11_, .Lfunc_end3-_ZN2ck16tensor_operation6device12_GLOBAL__N_137kernel_grouped_conv_fwd_dl_multiple_dINS_32GridwiseGemmDlMultipleD_km_kn_mnILi256EaiNS_5TupleIJaEEEaNS0_12element_wise11PassThroughES8_NS7_7AddReluELNS_25InMemoryDataOperationEnumE0ENS_16TensorDescriptorINS5_IJNS_5EmbedINS5_IJiiiEEESD_Lb0EEENS_11PassThroughIiEENS_3PadIiiiLb0EEESG_SG_NSC_INS5_IJiiEEESJ_Lb0EEESG_NS_23Merge_v2_magic_divisionISJ_EESM_NS_8RightPadIiiLb0EEESO_NS_7UnMergeISJ_Lb0EEESG_EEENS5_IJNS_8SequenceIJLi0EEEENSS_IJLi1EEEENSS_IJLi2EEEENSS_IJLi3EEEENSS_IJLi4EEEENSS_IJLi5EEEENSS_IJLi6EEEENSS_IJLi7ELi9EEEENSS_IJLi8ELi10EEEENSS_IJLi11EEEENSS_IJLi12EEEENSS_IJLi14EEEENSS_IJLi13EEEEEEENS5_IJNSS_IJLi1ELi2ELi3EEEESX_SY_SZ_NSS_IJLi7EEEENSS_IJLi8ELi9EEEENSS_IJLi10EEEES12_S13_S15_S14_NSS_IJLi15ELi16EEEENSS_IJLi17EEEEEEENSS_IJLi15ELi17ELi16EEEElEENSB_INS5_IJSQ_SO_SO_SQ_SG_EEENS5_IJST_SU_SV_SX_SW_EEENS5_IJNSS_IJLi1ELi2EEEESW_SX_NSS_IJLi5ELi6EEEES18_EEENSS_IJLi5ELi7ELi6EEEElEENSB_INS5_IJSK_SO_SO_EEENS5_IJST_SU_SV_EEENS5_IJS1I_SW_SX_EEENSS_IJLi3ELi4EEEElEELi128ELi128ELi16ELi4ELi4ELi4ELi1ENSS_IJLi8ELi2EEEES1S_NSS_IJLi8ELi1ELi1ELi4EEEENSS_IJLi2ELi1ELi128ELi1EEEENSS_IJLi1ELi2ELi0ELi3EEEES1V_NSS_IJLi4ELi1ELi1ELi4EEEES1V_NSS_IJLi1ELi1ELi1ELi4EEEES1T_S1U_S1V_S1V_S1W_S1V_S1X_NSS_IJLi0ELi1ELi2ELi3ELi4ELi5EEEELi5ELi4EEEaNS5_IJPKaEEEaS8_S8_S9_NSB_INS5_IJSE_SG_SI_SG_SG_SK_SG_SM_SM_SO_SO_SQ_SG_SG_NSP_INS5_IJiNS_17integral_constantIiLi128EEEEEELb0EEENSF_INS23_IiLi4EEEEEEEENS5_IJST_SU_SV_SW_SX_SY_SZ_S10_S11_S12_S13_S14_S15_NSS_IJLi15EEEES1C_NSS_IJLi16EEEEEEENS5_IJS17_SX_SY_SZ_S18_S19_S1A_S12_S13_S15_S14_S1B_S1C_NSS_IJLi18EEEENSS_IJLi19ELi20EEEENSS_IJLi21EEEEEEENSS_IJLi18ELi19ELi20ELi21EEEElEENSB_INS5_IJSQ_SO_SO_SQ_SG_SG_S26_S28_EEENS5_IJST_SU_SV_SX_SW_SY_S18_SZ_EEENS5_IJS1I_SW_SX_S1J_S18_NSS_IJLi8EEEENSS_IJLi9ELi10EEEES12_EEENSS_IJLi8ELi9ELi10ELi11EEEElEENS5_IJNSB_INS5_IJSK_SO_SO_NSP_INS5_IJiNS23_IiLi2EEENS23_IiLi64EEEEEELb0EEES2T_EEENS5_IJST_SU_SV_SW_SX_EEENS5_IJS1I_SW_SX_NSS_IJLi5ELi6ELi7EEEENSS_IJLi8ELi9ELi10EEEEEEENSS_IJLi5ELi6ELi7ELi8ELi9ELi10EEEElEEEEES30_NS_31BlockToCTileMap_M00_N00_M01_N01ILi128ELi128ES1R_Lb0EEENS1_30ComputePtrOffsetOfStridedBatchILi1ELi1ELi1EvEELb1ELb0EEEvPKT0_S38_T1_PT2_T3_T4_T5_iT6_T7_T8_T9_T10_T11_
                                        ; -- End function
	.section	.AMDGPU.csdata,"",@progbits
; Kernel info:
; codeLenInByte = 11792
; NumSgprs: 80
; NumVgprs: 112
; ScratchSize: 480
; MemoryBound: 0
; FloatMode: 240
; IeeeMode: 1
; LDSByteSize: 32768 bytes/workgroup (compile time only)
; SGPRBlocks: 9
; VGPRBlocks: 13
; NumSGPRsForWavesPerEU: 80
; NumVGPRsForWavesPerEU: 112
; Occupancy: 8
; WaveLimiterHint : 1
; COMPUTE_PGM_RSRC2:SCRATCH_EN: 1
; COMPUTE_PGM_RSRC2:USER_SGPR: 15
; COMPUTE_PGM_RSRC2:TRAP_HANDLER: 0
; COMPUTE_PGM_RSRC2:TGID_X_EN: 1
; COMPUTE_PGM_RSRC2:TGID_Y_EN: 0
; COMPUTE_PGM_RSRC2:TGID_Z_EN: 0
; COMPUTE_PGM_RSRC2:TIDIG_COMP_CNT: 0
	.section	.text._ZN2ck16tensor_operation6device12_GLOBAL__N_137kernel_grouped_conv_fwd_dl_multiple_dINS_32GridwiseGemmDlMultipleD_km_kn_mnILi256EaiNS_5TupleIJaEEEaNS0_12element_wise11PassThroughES8_NS7_7AddReluELNS_25InMemoryDataOperationEnumE0ENS_16TensorDescriptorINS5_IJNS_5EmbedINS5_IJiiiEEESD_Lb0EEENS_11PassThroughIiEENS_3PadIiiiLb0EEESG_SG_NSC_INS5_IJiiEEESJ_Lb0EEESG_NS_23Merge_v2_magic_divisionISJ_EESM_NS_8RightPadIiiLb0EEESO_NS_7UnMergeISJ_Lb0EEESG_EEENS5_IJNS_8SequenceIJLi0EEEENSS_IJLi1EEEENSS_IJLi2EEEENSS_IJLi3EEEENSS_IJLi4EEEENSS_IJLi5EEEENSS_IJLi6EEEENSS_IJLi7ELi9EEEENSS_IJLi8ELi10EEEENSS_IJLi11EEEENSS_IJLi12EEEENSS_IJLi14EEEENSS_IJLi13EEEEEEENS5_IJNSS_IJLi1ELi2ELi3EEEESX_SY_SZ_NSS_IJLi7EEEENSS_IJLi8ELi9EEEENSS_IJLi10EEEES12_S13_S15_S14_NSS_IJLi15ELi16EEEENSS_IJLi17EEEEEEENSS_IJLi15ELi17ELi16EEEElEENSB_INS5_IJSQ_SO_SO_SQ_SG_EEENS5_IJST_SU_SV_SX_SW_EEENS5_IJNSS_IJLi1ELi2EEEESW_SX_NSS_IJLi5ELi6EEEES18_EEENSS_IJLi5ELi7ELi6EEEElEENSB_INS5_IJSK_SO_SO_EEENS5_IJST_SU_SV_EEENS5_IJS1I_SW_SX_EEENSS_IJLi3ELi4EEEElEELi128ELi128ELi16ELi4ELi4ELi4ELi1ENSS_IJLi8ELi2EEEES1S_NSS_IJLi8ELi1ELi1ELi4EEEENSS_IJLi2ELi1ELi128ELi1EEEENSS_IJLi1ELi2ELi0ELi3EEEES1V_NSS_IJLi4ELi1ELi1ELi4EEEES1V_NSS_IJLi1ELi1ELi1ELi4EEEES1T_S1U_S1V_S1V_S1W_S1V_S1X_NSS_IJLi0ELi1ELi2ELi3ELi4ELi5EEEELi5ELi4EEEaNS5_IJPKaEEEaS8_S8_S9_NSB_INS5_IJSE_SG_SI_SG_SG_SK_SG_SM_SM_SO_SO_SQ_SG_SG_NSP_INS5_IJiNS_17integral_constantIiLi128EEEEEELb0EEENSF_INS23_IiLi4EEEEEEEENS5_IJST_SU_SV_SW_SX_SY_SZ_S10_S11_S12_S13_S14_S15_NSS_IJLi15EEEES1C_NSS_IJLi16EEEEEEENS5_IJS17_SX_SY_SZ_S18_S19_S1A_S12_S13_S15_S14_S1B_S1C_NSS_IJLi18EEEENSS_IJLi19ELi20EEEENSS_IJLi21EEEEEEENSS_IJLi18ELi19ELi20ELi21EEEElEENSB_INS5_IJSQ_SO_SO_SQ_SG_SG_S26_S28_EEENS5_IJST_SU_SV_SX_SW_SY_S18_SZ_EEENS5_IJS1I_SW_SX_S1J_S18_NSS_IJLi8EEEENSS_IJLi9ELi10EEEES12_EEENSS_IJLi8ELi9ELi10ELi11EEEElEENS5_IJNSB_INS5_IJSK_SO_SO_NSP_INS5_IJiNS23_IiLi2EEENS23_IiLi64EEEEEELb0EEES2T_EEENS5_IJST_SU_SV_SW_SX_EEENS5_IJS1I_SW_SX_NSS_IJLi5ELi6ELi7EEEENSS_IJLi8ELi9ELi10EEEEEEENSS_IJLi5ELi6ELi7ELi8ELi9ELi10EEEElEEEEES30_NS_31BlockToCTileMap_M00_N00_M01_N01ILi128ELi128ES1R_Lb0EEENS1_30ComputePtrOffsetOfStridedBatchILi1ELi1ELi1EvEELb0ELb1EEEvPKT0_S38_T1_PT2_T3_T4_T5_iT6_T7_T8_T9_T10_T11_,"axG",@progbits,_ZN2ck16tensor_operation6device12_GLOBAL__N_137kernel_grouped_conv_fwd_dl_multiple_dINS_32GridwiseGemmDlMultipleD_km_kn_mnILi256EaiNS_5TupleIJaEEEaNS0_12element_wise11PassThroughES8_NS7_7AddReluELNS_25InMemoryDataOperationEnumE0ENS_16TensorDescriptorINS5_IJNS_5EmbedINS5_IJiiiEEESD_Lb0EEENS_11PassThroughIiEENS_3PadIiiiLb0EEESG_SG_NSC_INS5_IJiiEEESJ_Lb0EEESG_NS_23Merge_v2_magic_divisionISJ_EESM_NS_8RightPadIiiLb0EEESO_NS_7UnMergeISJ_Lb0EEESG_EEENS5_IJNS_8SequenceIJLi0EEEENSS_IJLi1EEEENSS_IJLi2EEEENSS_IJLi3EEEENSS_IJLi4EEEENSS_IJLi5EEEENSS_IJLi6EEEENSS_IJLi7ELi9EEEENSS_IJLi8ELi10EEEENSS_IJLi11EEEENSS_IJLi12EEEENSS_IJLi14EEEENSS_IJLi13EEEEEEENS5_IJNSS_IJLi1ELi2ELi3EEEESX_SY_SZ_NSS_IJLi7EEEENSS_IJLi8ELi9EEEENSS_IJLi10EEEES12_S13_S15_S14_NSS_IJLi15ELi16EEEENSS_IJLi17EEEEEEENSS_IJLi15ELi17ELi16EEEElEENSB_INS5_IJSQ_SO_SO_SQ_SG_EEENS5_IJST_SU_SV_SX_SW_EEENS5_IJNSS_IJLi1ELi2EEEESW_SX_NSS_IJLi5ELi6EEEES18_EEENSS_IJLi5ELi7ELi6EEEElEENSB_INS5_IJSK_SO_SO_EEENS5_IJST_SU_SV_EEENS5_IJS1I_SW_SX_EEENSS_IJLi3ELi4EEEElEELi128ELi128ELi16ELi4ELi4ELi4ELi1ENSS_IJLi8ELi2EEEES1S_NSS_IJLi8ELi1ELi1ELi4EEEENSS_IJLi2ELi1ELi128ELi1EEEENSS_IJLi1ELi2ELi0ELi3EEEES1V_NSS_IJLi4ELi1ELi1ELi4EEEES1V_NSS_IJLi1ELi1ELi1ELi4EEEES1T_S1U_S1V_S1V_S1W_S1V_S1X_NSS_IJLi0ELi1ELi2ELi3ELi4ELi5EEEELi5ELi4EEEaNS5_IJPKaEEEaS8_S8_S9_NSB_INS5_IJSE_SG_SI_SG_SG_SK_SG_SM_SM_SO_SO_SQ_SG_SG_NSP_INS5_IJiNS_17integral_constantIiLi128EEEEEELb0EEENSF_INS23_IiLi4EEEEEEEENS5_IJST_SU_SV_SW_SX_SY_SZ_S10_S11_S12_S13_S14_S15_NSS_IJLi15EEEES1C_NSS_IJLi16EEEEEEENS5_IJS17_SX_SY_SZ_S18_S19_S1A_S12_S13_S15_S14_S1B_S1C_NSS_IJLi18EEEENSS_IJLi19ELi20EEEENSS_IJLi21EEEEEEENSS_IJLi18ELi19ELi20ELi21EEEElEENSB_INS5_IJSQ_SO_SO_SQ_SG_SG_S26_S28_EEENS5_IJST_SU_SV_SX_SW_SY_S18_SZ_EEENS5_IJS1I_SW_SX_S1J_S18_NSS_IJLi8EEEENSS_IJLi9ELi10EEEES12_EEENSS_IJLi8ELi9ELi10ELi11EEEElEENS5_IJNSB_INS5_IJSK_SO_SO_NSP_INS5_IJiNS23_IiLi2EEENS23_IiLi64EEEEEELb0EEES2T_EEENS5_IJST_SU_SV_SW_SX_EEENS5_IJS1I_SW_SX_NSS_IJLi5ELi6ELi7EEEENSS_IJLi8ELi9ELi10EEEEEEENSS_IJLi5ELi6ELi7ELi8ELi9ELi10EEEElEEEEES30_NS_31BlockToCTileMap_M00_N00_M01_N01ILi128ELi128ES1R_Lb0EEENS1_30ComputePtrOffsetOfStridedBatchILi1ELi1ELi1EvEELb0ELb1EEEvPKT0_S38_T1_PT2_T3_T4_T5_iT6_T7_T8_T9_T10_T11_,comdat
	.globl	_ZN2ck16tensor_operation6device12_GLOBAL__N_137kernel_grouped_conv_fwd_dl_multiple_dINS_32GridwiseGemmDlMultipleD_km_kn_mnILi256EaiNS_5TupleIJaEEEaNS0_12element_wise11PassThroughES8_NS7_7AddReluELNS_25InMemoryDataOperationEnumE0ENS_16TensorDescriptorINS5_IJNS_5EmbedINS5_IJiiiEEESD_Lb0EEENS_11PassThroughIiEENS_3PadIiiiLb0EEESG_SG_NSC_INS5_IJiiEEESJ_Lb0EEESG_NS_23Merge_v2_magic_divisionISJ_EESM_NS_8RightPadIiiLb0EEESO_NS_7UnMergeISJ_Lb0EEESG_EEENS5_IJNS_8SequenceIJLi0EEEENSS_IJLi1EEEENSS_IJLi2EEEENSS_IJLi3EEEENSS_IJLi4EEEENSS_IJLi5EEEENSS_IJLi6EEEENSS_IJLi7ELi9EEEENSS_IJLi8ELi10EEEENSS_IJLi11EEEENSS_IJLi12EEEENSS_IJLi14EEEENSS_IJLi13EEEEEEENS5_IJNSS_IJLi1ELi2ELi3EEEESX_SY_SZ_NSS_IJLi7EEEENSS_IJLi8ELi9EEEENSS_IJLi10EEEES12_S13_S15_S14_NSS_IJLi15ELi16EEEENSS_IJLi17EEEEEEENSS_IJLi15ELi17ELi16EEEElEENSB_INS5_IJSQ_SO_SO_SQ_SG_EEENS5_IJST_SU_SV_SX_SW_EEENS5_IJNSS_IJLi1ELi2EEEESW_SX_NSS_IJLi5ELi6EEEES18_EEENSS_IJLi5ELi7ELi6EEEElEENSB_INS5_IJSK_SO_SO_EEENS5_IJST_SU_SV_EEENS5_IJS1I_SW_SX_EEENSS_IJLi3ELi4EEEElEELi128ELi128ELi16ELi4ELi4ELi4ELi1ENSS_IJLi8ELi2EEEES1S_NSS_IJLi8ELi1ELi1ELi4EEEENSS_IJLi2ELi1ELi128ELi1EEEENSS_IJLi1ELi2ELi0ELi3EEEES1V_NSS_IJLi4ELi1ELi1ELi4EEEES1V_NSS_IJLi1ELi1ELi1ELi4EEEES1T_S1U_S1V_S1V_S1W_S1V_S1X_NSS_IJLi0ELi1ELi2ELi3ELi4ELi5EEEELi5ELi4EEEaNS5_IJPKaEEEaS8_S8_S9_NSB_INS5_IJSE_SG_SI_SG_SG_SK_SG_SM_SM_SO_SO_SQ_SG_SG_NSP_INS5_IJiNS_17integral_constantIiLi128EEEEEELb0EEENSF_INS23_IiLi4EEEEEEEENS5_IJST_SU_SV_SW_SX_SY_SZ_S10_S11_S12_S13_S14_S15_NSS_IJLi15EEEES1C_NSS_IJLi16EEEEEEENS5_IJS17_SX_SY_SZ_S18_S19_S1A_S12_S13_S15_S14_S1B_S1C_NSS_IJLi18EEEENSS_IJLi19ELi20EEEENSS_IJLi21EEEEEEENSS_IJLi18ELi19ELi20ELi21EEEElEENSB_INS5_IJSQ_SO_SO_SQ_SG_SG_S26_S28_EEENS5_IJST_SU_SV_SX_SW_SY_S18_SZ_EEENS5_IJS1I_SW_SX_S1J_S18_NSS_IJLi8EEEENSS_IJLi9ELi10EEEES12_EEENSS_IJLi8ELi9ELi10ELi11EEEElEENS5_IJNSB_INS5_IJSK_SO_SO_NSP_INS5_IJiNS23_IiLi2EEENS23_IiLi64EEEEEELb0EEES2T_EEENS5_IJST_SU_SV_SW_SX_EEENS5_IJS1I_SW_SX_NSS_IJLi5ELi6ELi7EEEENSS_IJLi8ELi9ELi10EEEEEEENSS_IJLi5ELi6ELi7ELi8ELi9ELi10EEEElEEEEES30_NS_31BlockToCTileMap_M00_N00_M01_N01ILi128ELi128ES1R_Lb0EEENS1_30ComputePtrOffsetOfStridedBatchILi1ELi1ELi1EvEELb0ELb1EEEvPKT0_S38_T1_PT2_T3_T4_T5_iT6_T7_T8_T9_T10_T11_ ; -- Begin function _ZN2ck16tensor_operation6device12_GLOBAL__N_137kernel_grouped_conv_fwd_dl_multiple_dINS_32GridwiseGemmDlMultipleD_km_kn_mnILi256EaiNS_5TupleIJaEEEaNS0_12element_wise11PassThroughES8_NS7_7AddReluELNS_25InMemoryDataOperationEnumE0ENS_16TensorDescriptorINS5_IJNS_5EmbedINS5_IJiiiEEESD_Lb0EEENS_11PassThroughIiEENS_3PadIiiiLb0EEESG_SG_NSC_INS5_IJiiEEESJ_Lb0EEESG_NS_23Merge_v2_magic_divisionISJ_EESM_NS_8RightPadIiiLb0EEESO_NS_7UnMergeISJ_Lb0EEESG_EEENS5_IJNS_8SequenceIJLi0EEEENSS_IJLi1EEEENSS_IJLi2EEEENSS_IJLi3EEEENSS_IJLi4EEEENSS_IJLi5EEEENSS_IJLi6EEEENSS_IJLi7ELi9EEEENSS_IJLi8ELi10EEEENSS_IJLi11EEEENSS_IJLi12EEEENSS_IJLi14EEEENSS_IJLi13EEEEEEENS5_IJNSS_IJLi1ELi2ELi3EEEESX_SY_SZ_NSS_IJLi7EEEENSS_IJLi8ELi9EEEENSS_IJLi10EEEES12_S13_S15_S14_NSS_IJLi15ELi16EEEENSS_IJLi17EEEEEEENSS_IJLi15ELi17ELi16EEEElEENSB_INS5_IJSQ_SO_SO_SQ_SG_EEENS5_IJST_SU_SV_SX_SW_EEENS5_IJNSS_IJLi1ELi2EEEESW_SX_NSS_IJLi5ELi6EEEES18_EEENSS_IJLi5ELi7ELi6EEEElEENSB_INS5_IJSK_SO_SO_EEENS5_IJST_SU_SV_EEENS5_IJS1I_SW_SX_EEENSS_IJLi3ELi4EEEElEELi128ELi128ELi16ELi4ELi4ELi4ELi1ENSS_IJLi8ELi2EEEES1S_NSS_IJLi8ELi1ELi1ELi4EEEENSS_IJLi2ELi1ELi128ELi1EEEENSS_IJLi1ELi2ELi0ELi3EEEES1V_NSS_IJLi4ELi1ELi1ELi4EEEES1V_NSS_IJLi1ELi1ELi1ELi4EEEES1T_S1U_S1V_S1V_S1W_S1V_S1X_NSS_IJLi0ELi1ELi2ELi3ELi4ELi5EEEELi5ELi4EEEaNS5_IJPKaEEEaS8_S8_S9_NSB_INS5_IJSE_SG_SI_SG_SG_SK_SG_SM_SM_SO_SO_SQ_SG_SG_NSP_INS5_IJiNS_17integral_constantIiLi128EEEEEELb0EEENSF_INS23_IiLi4EEEEEEEENS5_IJST_SU_SV_SW_SX_SY_SZ_S10_S11_S12_S13_S14_S15_NSS_IJLi15EEEES1C_NSS_IJLi16EEEEEEENS5_IJS17_SX_SY_SZ_S18_S19_S1A_S12_S13_S15_S14_S1B_S1C_NSS_IJLi18EEEENSS_IJLi19ELi20EEEENSS_IJLi21EEEEEEENSS_IJLi18ELi19ELi20ELi21EEEElEENSB_INS5_IJSQ_SO_SO_SQ_SG_SG_S26_S28_EEENS5_IJST_SU_SV_SX_SW_SY_S18_SZ_EEENS5_IJS1I_SW_SX_S1J_S18_NSS_IJLi8EEEENSS_IJLi9ELi10EEEES12_EEENSS_IJLi8ELi9ELi10ELi11EEEElEENS5_IJNSB_INS5_IJSK_SO_SO_NSP_INS5_IJiNS23_IiLi2EEENS23_IiLi64EEEEEELb0EEES2T_EEENS5_IJST_SU_SV_SW_SX_EEENS5_IJS1I_SW_SX_NSS_IJLi5ELi6ELi7EEEENSS_IJLi8ELi9ELi10EEEEEEENSS_IJLi5ELi6ELi7ELi8ELi9ELi10EEEElEEEEES30_NS_31BlockToCTileMap_M00_N00_M01_N01ILi128ELi128ES1R_Lb0EEENS1_30ComputePtrOffsetOfStridedBatchILi1ELi1ELi1EvEELb0ELb1EEEvPKT0_S38_T1_PT2_T3_T4_T5_iT6_T7_T8_T9_T10_T11_
	.p2align	8
	.type	_ZN2ck16tensor_operation6device12_GLOBAL__N_137kernel_grouped_conv_fwd_dl_multiple_dINS_32GridwiseGemmDlMultipleD_km_kn_mnILi256EaiNS_5TupleIJaEEEaNS0_12element_wise11PassThroughES8_NS7_7AddReluELNS_25InMemoryDataOperationEnumE0ENS_16TensorDescriptorINS5_IJNS_5EmbedINS5_IJiiiEEESD_Lb0EEENS_11PassThroughIiEENS_3PadIiiiLb0EEESG_SG_NSC_INS5_IJiiEEESJ_Lb0EEESG_NS_23Merge_v2_magic_divisionISJ_EESM_NS_8RightPadIiiLb0EEESO_NS_7UnMergeISJ_Lb0EEESG_EEENS5_IJNS_8SequenceIJLi0EEEENSS_IJLi1EEEENSS_IJLi2EEEENSS_IJLi3EEEENSS_IJLi4EEEENSS_IJLi5EEEENSS_IJLi6EEEENSS_IJLi7ELi9EEEENSS_IJLi8ELi10EEEENSS_IJLi11EEEENSS_IJLi12EEEENSS_IJLi14EEEENSS_IJLi13EEEEEEENS5_IJNSS_IJLi1ELi2ELi3EEEESX_SY_SZ_NSS_IJLi7EEEENSS_IJLi8ELi9EEEENSS_IJLi10EEEES12_S13_S15_S14_NSS_IJLi15ELi16EEEENSS_IJLi17EEEEEEENSS_IJLi15ELi17ELi16EEEElEENSB_INS5_IJSQ_SO_SO_SQ_SG_EEENS5_IJST_SU_SV_SX_SW_EEENS5_IJNSS_IJLi1ELi2EEEESW_SX_NSS_IJLi5ELi6EEEES18_EEENSS_IJLi5ELi7ELi6EEEElEENSB_INS5_IJSK_SO_SO_EEENS5_IJST_SU_SV_EEENS5_IJS1I_SW_SX_EEENSS_IJLi3ELi4EEEElEELi128ELi128ELi16ELi4ELi4ELi4ELi1ENSS_IJLi8ELi2EEEES1S_NSS_IJLi8ELi1ELi1ELi4EEEENSS_IJLi2ELi1ELi128ELi1EEEENSS_IJLi1ELi2ELi0ELi3EEEES1V_NSS_IJLi4ELi1ELi1ELi4EEEES1V_NSS_IJLi1ELi1ELi1ELi4EEEES1T_S1U_S1V_S1V_S1W_S1V_S1X_NSS_IJLi0ELi1ELi2ELi3ELi4ELi5EEEELi5ELi4EEEaNS5_IJPKaEEEaS8_S8_S9_NSB_INS5_IJSE_SG_SI_SG_SG_SK_SG_SM_SM_SO_SO_SQ_SG_SG_NSP_INS5_IJiNS_17integral_constantIiLi128EEEEEELb0EEENSF_INS23_IiLi4EEEEEEEENS5_IJST_SU_SV_SW_SX_SY_SZ_S10_S11_S12_S13_S14_S15_NSS_IJLi15EEEES1C_NSS_IJLi16EEEEEEENS5_IJS17_SX_SY_SZ_S18_S19_S1A_S12_S13_S15_S14_S1B_S1C_NSS_IJLi18EEEENSS_IJLi19ELi20EEEENSS_IJLi21EEEEEEENSS_IJLi18ELi19ELi20ELi21EEEElEENSB_INS5_IJSQ_SO_SO_SQ_SG_SG_S26_S28_EEENS5_IJST_SU_SV_SX_SW_SY_S18_SZ_EEENS5_IJS1I_SW_SX_S1J_S18_NSS_IJLi8EEEENSS_IJLi9ELi10EEEES12_EEENSS_IJLi8ELi9ELi10ELi11EEEElEENS5_IJNSB_INS5_IJSK_SO_SO_NSP_INS5_IJiNS23_IiLi2EEENS23_IiLi64EEEEEELb0EEES2T_EEENS5_IJST_SU_SV_SW_SX_EEENS5_IJS1I_SW_SX_NSS_IJLi5ELi6ELi7EEEENSS_IJLi8ELi9ELi10EEEEEEENSS_IJLi5ELi6ELi7ELi8ELi9ELi10EEEElEEEEES30_NS_31BlockToCTileMap_M00_N00_M01_N01ILi128ELi128ES1R_Lb0EEENS1_30ComputePtrOffsetOfStridedBatchILi1ELi1ELi1EvEELb0ELb1EEEvPKT0_S38_T1_PT2_T3_T4_T5_iT6_T7_T8_T9_T10_T11_,@function
_ZN2ck16tensor_operation6device12_GLOBAL__N_137kernel_grouped_conv_fwd_dl_multiple_dINS_32GridwiseGemmDlMultipleD_km_kn_mnILi256EaiNS_5TupleIJaEEEaNS0_12element_wise11PassThroughES8_NS7_7AddReluELNS_25InMemoryDataOperationEnumE0ENS_16TensorDescriptorINS5_IJNS_5EmbedINS5_IJiiiEEESD_Lb0EEENS_11PassThroughIiEENS_3PadIiiiLb0EEESG_SG_NSC_INS5_IJiiEEESJ_Lb0EEESG_NS_23Merge_v2_magic_divisionISJ_EESM_NS_8RightPadIiiLb0EEESO_NS_7UnMergeISJ_Lb0EEESG_EEENS5_IJNS_8SequenceIJLi0EEEENSS_IJLi1EEEENSS_IJLi2EEEENSS_IJLi3EEEENSS_IJLi4EEEENSS_IJLi5EEEENSS_IJLi6EEEENSS_IJLi7ELi9EEEENSS_IJLi8ELi10EEEENSS_IJLi11EEEENSS_IJLi12EEEENSS_IJLi14EEEENSS_IJLi13EEEEEEENS5_IJNSS_IJLi1ELi2ELi3EEEESX_SY_SZ_NSS_IJLi7EEEENSS_IJLi8ELi9EEEENSS_IJLi10EEEES12_S13_S15_S14_NSS_IJLi15ELi16EEEENSS_IJLi17EEEEEEENSS_IJLi15ELi17ELi16EEEElEENSB_INS5_IJSQ_SO_SO_SQ_SG_EEENS5_IJST_SU_SV_SX_SW_EEENS5_IJNSS_IJLi1ELi2EEEESW_SX_NSS_IJLi5ELi6EEEES18_EEENSS_IJLi5ELi7ELi6EEEElEENSB_INS5_IJSK_SO_SO_EEENS5_IJST_SU_SV_EEENS5_IJS1I_SW_SX_EEENSS_IJLi3ELi4EEEElEELi128ELi128ELi16ELi4ELi4ELi4ELi1ENSS_IJLi8ELi2EEEES1S_NSS_IJLi8ELi1ELi1ELi4EEEENSS_IJLi2ELi1ELi128ELi1EEEENSS_IJLi1ELi2ELi0ELi3EEEES1V_NSS_IJLi4ELi1ELi1ELi4EEEES1V_NSS_IJLi1ELi1ELi1ELi4EEEES1T_S1U_S1V_S1V_S1W_S1V_S1X_NSS_IJLi0ELi1ELi2ELi3ELi4ELi5EEEELi5ELi4EEEaNS5_IJPKaEEEaS8_S8_S9_NSB_INS5_IJSE_SG_SI_SG_SG_SK_SG_SM_SM_SO_SO_SQ_SG_SG_NSP_INS5_IJiNS_17integral_constantIiLi128EEEEEELb0EEENSF_INS23_IiLi4EEEEEEEENS5_IJST_SU_SV_SW_SX_SY_SZ_S10_S11_S12_S13_S14_S15_NSS_IJLi15EEEES1C_NSS_IJLi16EEEEEEENS5_IJS17_SX_SY_SZ_S18_S19_S1A_S12_S13_S15_S14_S1B_S1C_NSS_IJLi18EEEENSS_IJLi19ELi20EEEENSS_IJLi21EEEEEEENSS_IJLi18ELi19ELi20ELi21EEEElEENSB_INS5_IJSQ_SO_SO_SQ_SG_SG_S26_S28_EEENS5_IJST_SU_SV_SX_SW_SY_S18_SZ_EEENS5_IJS1I_SW_SX_S1J_S18_NSS_IJLi8EEEENSS_IJLi9ELi10EEEES12_EEENSS_IJLi8ELi9ELi10ELi11EEEElEENS5_IJNSB_INS5_IJSK_SO_SO_NSP_INS5_IJiNS23_IiLi2EEENS23_IiLi64EEEEEELb0EEES2T_EEENS5_IJST_SU_SV_SW_SX_EEENS5_IJS1I_SW_SX_NSS_IJLi5ELi6ELi7EEEENSS_IJLi8ELi9ELi10EEEEEEENSS_IJLi5ELi6ELi7ELi8ELi9ELi10EEEElEEEEES30_NS_31BlockToCTileMap_M00_N00_M01_N01ILi128ELi128ES1R_Lb0EEENS1_30ComputePtrOffsetOfStridedBatchILi1ELi1ELi1EvEELb0ELb1EEEvPKT0_S38_T1_PT2_T3_T4_T5_iT6_T7_T8_T9_T10_T11_: ; @_ZN2ck16tensor_operation6device12_GLOBAL__N_137kernel_grouped_conv_fwd_dl_multiple_dINS_32GridwiseGemmDlMultipleD_km_kn_mnILi256EaiNS_5TupleIJaEEEaNS0_12element_wise11PassThroughES8_NS7_7AddReluELNS_25InMemoryDataOperationEnumE0ENS_16TensorDescriptorINS5_IJNS_5EmbedINS5_IJiiiEEESD_Lb0EEENS_11PassThroughIiEENS_3PadIiiiLb0EEESG_SG_NSC_INS5_IJiiEEESJ_Lb0EEESG_NS_23Merge_v2_magic_divisionISJ_EESM_NS_8RightPadIiiLb0EEESO_NS_7UnMergeISJ_Lb0EEESG_EEENS5_IJNS_8SequenceIJLi0EEEENSS_IJLi1EEEENSS_IJLi2EEEENSS_IJLi3EEEENSS_IJLi4EEEENSS_IJLi5EEEENSS_IJLi6EEEENSS_IJLi7ELi9EEEENSS_IJLi8ELi10EEEENSS_IJLi11EEEENSS_IJLi12EEEENSS_IJLi14EEEENSS_IJLi13EEEEEEENS5_IJNSS_IJLi1ELi2ELi3EEEESX_SY_SZ_NSS_IJLi7EEEENSS_IJLi8ELi9EEEENSS_IJLi10EEEES12_S13_S15_S14_NSS_IJLi15ELi16EEEENSS_IJLi17EEEEEEENSS_IJLi15ELi17ELi16EEEElEENSB_INS5_IJSQ_SO_SO_SQ_SG_EEENS5_IJST_SU_SV_SX_SW_EEENS5_IJNSS_IJLi1ELi2EEEESW_SX_NSS_IJLi5ELi6EEEES18_EEENSS_IJLi5ELi7ELi6EEEElEENSB_INS5_IJSK_SO_SO_EEENS5_IJST_SU_SV_EEENS5_IJS1I_SW_SX_EEENSS_IJLi3ELi4EEEElEELi128ELi128ELi16ELi4ELi4ELi4ELi1ENSS_IJLi8ELi2EEEES1S_NSS_IJLi8ELi1ELi1ELi4EEEENSS_IJLi2ELi1ELi128ELi1EEEENSS_IJLi1ELi2ELi0ELi3EEEES1V_NSS_IJLi4ELi1ELi1ELi4EEEES1V_NSS_IJLi1ELi1ELi1ELi4EEEES1T_S1U_S1V_S1V_S1W_S1V_S1X_NSS_IJLi0ELi1ELi2ELi3ELi4ELi5EEEELi5ELi4EEEaNS5_IJPKaEEEaS8_S8_S9_NSB_INS5_IJSE_SG_SI_SG_SG_SK_SG_SM_SM_SO_SO_SQ_SG_SG_NSP_INS5_IJiNS_17integral_constantIiLi128EEEEEELb0EEENSF_INS23_IiLi4EEEEEEEENS5_IJST_SU_SV_SW_SX_SY_SZ_S10_S11_S12_S13_S14_S15_NSS_IJLi15EEEES1C_NSS_IJLi16EEEEEEENS5_IJS17_SX_SY_SZ_S18_S19_S1A_S12_S13_S15_S14_S1B_S1C_NSS_IJLi18EEEENSS_IJLi19ELi20EEEENSS_IJLi21EEEEEEENSS_IJLi18ELi19ELi20ELi21EEEElEENSB_INS5_IJSQ_SO_SO_SQ_SG_SG_S26_S28_EEENS5_IJST_SU_SV_SX_SW_SY_S18_SZ_EEENS5_IJS1I_SW_SX_S1J_S18_NSS_IJLi8EEEENSS_IJLi9ELi10EEEES12_EEENSS_IJLi8ELi9ELi10ELi11EEEElEENS5_IJNSB_INS5_IJSK_SO_SO_NSP_INS5_IJiNS23_IiLi2EEENS23_IiLi64EEEEEELb0EEES2T_EEENS5_IJST_SU_SV_SW_SX_EEENS5_IJS1I_SW_SX_NSS_IJLi5ELi6ELi7EEEENSS_IJLi8ELi9ELi10EEEEEEENSS_IJLi5ELi6ELi7ELi8ELi9ELi10EEEElEEEEES30_NS_31BlockToCTileMap_M00_N00_M01_N01ILi128ELi128ES1R_Lb0EEENS1_30ComputePtrOffsetOfStridedBatchILi1ELi1ELi1EvEELb0ELb1EEEvPKT0_S38_T1_PT2_T3_T4_T5_iT6_T7_T8_T9_T10_T11_
; %bb.0:
	s_clause 0x1
	s_load_b32 s3, s[0:1], 0x24
	s_load_b32 s4, s[0:1], 0x288
	s_mov_b64 s[12:13], src_shared_base
	s_mov_b32 s44, 0
	s_load_b256 s[16:23], s[0:1], 0x34
	s_mov_b32 s45, s44
	s_mov_b32 s46, s44
	;; [unrolled: 1-line block ×3, first 2 shown]
	v_dual_mov_b32 v17, s13 :: v_dual_mov_b32 v38, s44
	s_clause 0x3
	s_load_b64 s[34:35], s[0:1], 0x60
	s_load_b32 s39, s[0:1], 0x70
	s_load_b32 s43, s[0:1], 0x78
	s_load_b32 s65, s[0:1], 0x80
	s_waitcnt lgkmcnt(0)
	s_clause 0x3
	s_load_b32 s19, s[0:1], 0x8c
	s_load_b32 s61, s[0:1], 0x94
	;; [unrolled: 1-line block ×4, first 2 shown]
	v_dual_mov_b32 v39, s45 :: v_dual_mov_b32 v40, s46
	v_dual_mov_b32 v41, s47 :: v_dual_lshlrev_b32 v2, 3, v0
	v_lshrrev_b32_e32 v22, 1, v0
	v_lshrrev_b32_e32 v6, 5, v0
	s_movk_i32 s32, 0x1e0
	v_mov_b32_e32 v34, 0
	v_lshlrev_b32_e32 v8, 1, v0
	s_abs_i32 s2, s3
	s_abs_i32 s7, s4
	v_cvt_f32_u32_e32 v1, s2
	s_sub_i32 s6, 0, s2
	s_xor_b32 s3, s4, s3
	v_dual_mov_b32 v5, v34 :: v_dual_lshlrev_b32 v0, 2, v0
	s_delay_alu instid0(VALU_DEP_2)
	v_rcp_iflag_f32_e32 v1, v1
	s_ashr_i32 s3, s3, 31
	v_dual_mov_b32 v36, v34 :: v_dual_and_b32 v23, 8, v2
	v_dual_mov_b32 v7, v34 :: v_dual_lshlrev_b32 v2, 6, v6
	v_mov_b32_e32 v13, v34
	v_mov_b32_e32 v15, v34
	;; [unrolled: 1-line block ×3, first 2 shown]
	s_waitcnt_depctr 0xfff
	v_mul_f32_e32 v1, 0x4f7ffffe, v1
	s_delay_alu instid0(VALU_DEP_1) | instskip(NEXT) | instid1(VALU_DEP_1)
	v_cvt_u32_f32_e32 v1, v1
	v_readfirstlane_b32 s5, v1
	s_delay_alu instid0(VALU_DEP_1) | instskip(NEXT) | instid1(SALU_CYCLE_1)
	s_mul_i32 s6, s6, s5
	s_mul_hi_u32 s6, s5, s6
	s_delay_alu instid0(SALU_CYCLE_1) | instskip(NEXT) | instid1(SALU_CYCLE_1)
	s_add_i32 s5, s5, s6
	s_mul_hi_u32 s5, s7, s5
	s_delay_alu instid0(SALU_CYCLE_1) | instskip(SKIP_2) | instid1(SALU_CYCLE_1)
	s_mul_i32 s4, s5, s2
	s_add_i32 s6, s5, 1
	s_sub_i32 s4, s7, s4
	s_sub_i32 s7, s4, s2
	s_cmp_ge_u32 s4, s2
	s_cselect_b32 s12, s6, s5
	s_cselect_b32 s4, s7, s4
	s_add_i32 s14, s12, 1
	s_cmp_ge_u32 s4, s2
	s_load_b256 s[4:11], s[0:1], 0x0
	s_cselect_b32 s2, s14, s12
	s_abs_i32 s37, s15
	s_xor_b32 s2, s2, s3
	s_delay_alu instid0(SALU_CYCLE_1)
	s_sub_i32 s2, s2, s3
	s_clause 0x6
	s_load_b32 s62, s[0:1], 0xc4
	s_load_b32 s38, s[0:1], 0xe8
	;; [unrolled: 1-line block ×7, first 2 shown]
	s_abs_i32 s12, s2
	s_clause 0x1
	s_load_b32 s23, s[0:1], 0x204
	s_load_b32 s66, s[0:1], 0x214
	v_cvt_f32_u32_e32 v1, s12
	s_sub_i32 s36, 0, s12
	s_clause 0x3
	s_load_b128 s[48:51], s[0:1], 0x220
	s_load_b128 s[56:59], s[0:1], 0x234
	;; [unrolled: 1-line block ×3, first 2 shown]
	s_load_b256 s[24:31], s[0:1], 0x260
	s_xor_b32 s2, s15, s2
	s_clause 0x1
	scratch_store_b128 off, v[38:41], off offset:144
	scratch_store_b128 off, v[38:41], off offset:160
	v_rcp_iflag_f32_e32 v1, v1
	s_ashr_i32 s2, s2, 31
	s_clause 0x7
	scratch_store_b128 off, v[38:41], off offset:176
	scratch_store_b128 off, v[38:41], off offset:192
	scratch_store_b128 off, v[38:41], off offset:208
	scratch_store_b128 off, v[38:41], off offset:224
	scratch_store_b128 off, v[38:41], off offset:240
	scratch_store_b128 off, v[38:41], off offset:256
	scratch_store_b128 off, v[38:41], off offset:272
	scratch_store_b128 off, v[38:41], off offset:288
	s_waitcnt lgkmcnt(0)
	v_mul_lo_u32 v24, s62, v23
	s_clause 0x5
	scratch_store_b128 off, v[38:41], off offset:304
	scratch_store_b128 off, v[38:41], off offset:320
	;; [unrolled: 1-line block ×6, first 2 shown]
	v_dual_mul_f32 v4, 0x4f7ffffe, v1 :: v_dual_mov_b32 v1, v34
	v_mov_b32_e32 v9, v34
	v_mov_b32_e32 v11, v34
	v_mul_lo_u32 v18, s14, v23
	s_delay_alu instid0(VALU_DEP_4) | instskip(SKIP_1) | instid1(VALU_DEP_1)
	v_cvt_u32_f32_e32 v10, v4
	s_mul_hi_u32 s44, s59, s15
	v_readfirstlane_b32 s13, v10
	v_and_b32_e32 v10, 0x1f8, v8
	v_and_b32_e32 v8, 0x1fc, v8
	s_delay_alu instid0(VALU_DEP_3) | instskip(NEXT) | instid1(VALU_DEP_2)
	s_mul_i32 s36, s36, s13
	v_sub_nc_u32_e32 v2, v10, v2
	s_mul_hi_u32 s36, s13, s36
	s_delay_alu instid0(VALU_DEP_2) | instskip(SKIP_1) | instid1(VALU_DEP_2)
	v_sub_nc_u32_e32 v8, v8, v10
	s_add_i32 s13, s13, s36
	v_and_or_b32 v37, v0, 4, v2
	s_mul_hi_u32 s13, s37, s13
	s_delay_alu instid0(VALU_DEP_2)
	v_lshl_add_u32 v35, v6, 3, v8
	s_mul_i32 s36, s13, s12
	v_mul_hi_u32 v8, v24, s61
	s_sub_i32 s36, s37, s36
	s_add_i32 s37, s13, 1
	s_sub_i32 s40, s36, s12
	s_cmp_ge_u32 s36, s12
	v_lshlrev_b32_e32 v0, 2, v35
	s_cselect_b32 s13, s37, s13
	s_cselect_b32 s36, s40, s36
	s_add_i32 s37, s13, 1
	s_cmp_ge_u32 s36, s12
	v_mov_b32_e32 v6, v35
	s_cselect_b32 s12, s37, s13
	v_mov_b32_e32 v14, v37
	s_xor_b32 s12, s12, s2
	s_delay_alu instid0(SALU_CYCLE_1) | instskip(NEXT) | instid1(SALU_CYCLE_1)
	s_sub_i32 s2, s12, s2
	s_ashr_i32 s12, s2, 31
	s_mul_hi_u32 s13, s24, s2
	s_mul_i32 s36, s24, s2
	s_mul_hi_u32 s37, s26, s2
	s_mul_i32 s40, s26, s2
	s_mul_hi_u32 s41, s30, s2
	s_mul_i32 s45, s30, s2
	s_mul_hi_u32 s46, s28, s2
	s_mul_i32 s24, s24, s12
	s_mul_i32 s26, s26, s12
	s_mul_i32 s30, s30, s12
	s_mul_i32 s12, s28, s12
	s_mul_i32 s25, s25, s2
	s_mul_i32 s27, s27, s2
	s_mul_i32 s31, s31, s2
	s_mul_i32 s29, s29, s2
	s_add_i32 s13, s13, s24
	s_add_i32 s24, s37, s26
	;; [unrolled: 1-line block ×4, first 2 shown]
	s_mul_i32 s2, s28, s2
	s_add_i32 s13, s13, s25
	s_add_i32 s27, s24, s27
	;; [unrolled: 1-line block ×4, first 2 shown]
	s_add_u32 s24, s8, s2
	s_addc_u32 s25, s9, s12
	s_add_u32 s36, s4, s36
	s_addc_u32 s37, s5, s13
	;; [unrolled: 2-line block ×4, first 2 shown]
	s_add_i32 s2, s15, s44
	s_lshl_b32 s10, s62, 2
	s_lshr_b32 s2, s2, s55
	v_mov_b32_e32 v12, v34
	s_mul_hi_u32 s4, s2, s58
	v_mov_b32_e32 v2, v35
	s_add_i32 s4, s2, s4
	s_load_b32 s30, s[0:1], 0xb4
	s_lshr_b32 s4, s4, s54
	s_sub_i32 s31, s20, s22
	s_mul_hi_u32 s5, s4, s57
	s_mul_i32 s7, s4, s50
	s_add_i32 s5, s4, s5
	s_sub_i32 s7, s2, s7
	s_lshr_b32 s5, s5, s53
	s_mul_i32 s2, s2, s51
	s_mul_hi_u32 s6, s5, s56
	s_sub_i32 s2, s15, s2
	s_add_i32 s6, s5, s6
	s_lshl_b32 s29, s14, 2
	s_lshr_b32 s6, s6, s52
	s_delay_alu instid0(SALU_CYCLE_1) | instskip(NEXT) | instid1(SALU_CYCLE_1)
	s_mul_i32 s6, s6, s48
	s_sub_i32 s6, s5, s6
	s_mul_i32 s5, s5, s49
	s_mul_i32 s6, s6, s23
	s_sub_i32 s4, s4, s5
	s_add_i32 s7, s7, s6
	s_mul_i32 s4, s4, s66
	s_lshl_b32 s23, s7, 7
	s_add_i32 s2, s2, s4
	v_or_b32_e32 v25, s23, v22
	s_lshl_b32 s27, s2, 7
	v_cmp_gt_i32_e64 s4, s33, v18
	s_delay_alu instid0(VALU_DEP_2) | instskip(NEXT) | instid1(VALU_DEP_1)
	v_mul_hi_u32 v10, v25, s43
	v_dual_mov_b32 v4, v34 :: v_dual_add_nc_u32 v19, v25, v10
	s_delay_alu instid0(VALU_DEP_1) | instskip(SKIP_2) | instid1(VALU_DEP_1)
	v_lshrrev_b32_e32 v27, s65, v19
	v_dual_mov_b32 v16, v34 :: v_dual_add_nc_u32 v19, s10, v24
	s_waitcnt lgkmcnt(0)
	v_cmp_gt_i32_e64 s5, s30, v19
	scratch_store_b64 off, v[16:17], off offset:400
	v_mov_b32_e32 v16, 0x4000
	scratch_store_b64 off, v[16:17], off offset:416
	v_mov_b32_e32 v16, 0x2000
	scratch_store_b64 off, v[16:17], off offset:432
	v_add_nc_u32_e32 v16, v24, v8
	s_clause 0x1
	scratch_store_b128 off, v[34:37], off offset:64
	scratch_store_b128 off, v[0:3], off offset:80
	v_mul_lo_u32 v2, v27, s39
	v_mul_hi_u32 v3, v19, s61
	v_lshlrev_b32_e32 v8, 2, v37
	v_lshrrev_b32_e32 v26, s60, v16
	v_mov_b32_e32 v16, 0x6000
	s_mov_b32 s39, 0x31004000
	s_delay_alu instid0(SALU_CYCLE_1) | instskip(NEXT) | instid1(VALU_DEP_2)
	s_mov_b32 s43, s39
	v_mul_lo_u32 v1, v26, s19
	v_mul_lo_u32 v0, v26, s34
	v_sub_nc_u32_e32 v2, v25, v2
	v_add_nc_u32_e32 v3, v19, v3
	s_delay_alu instid0(VALU_DEP_1) | instskip(NEXT) | instid1(VALU_DEP_3)
	v_lshrrev_b32_e32 v28, s60, v3
	v_mad_u64_u32 v[20:21], null, v2, s35, v[0:1]
	v_or_b32_e32 v21, s27, v22
	s_delay_alu instid0(VALU_DEP_3) | instskip(NEXT) | instid1(VALU_DEP_2)
	v_sub_nc_u32_e32 v2, v28, v26
	v_cmp_gt_i32_e32 vcc_lo, s64, v21
	s_delay_alu instid0(VALU_DEP_4) | instskip(SKIP_2) | instid1(VALU_DEP_3)
	v_mad_u64_u32 v[74:75], null, s62, 12, v[19:20]
	v_cmp_le_i32_e64 s2, s21, v20
	v_cmp_gt_i32_e64 s6, s31, v20
	v_dual_mov_b32 v10, v37 :: v_dual_add_nc_u32 v75, s10, v74
	s_clause 0x7
	scratch_store_b128 off, v[4:7], off offset:96
	scratch_store_b128 off, v[8:11], off offset:112
	;; [unrolled: 1-line block ×3, first 2 shown]
	scratch_store_b8 off, v34, off offset:409
	scratch_store_b8 off, v34, off offset:425
	;; [unrolled: 1-line block ×3, first 2 shown]
	scratch_store_b64 off, v[16:17], off offset:448
	scratch_store_b8 off, v34, off offset:457
	v_mul_lo_u32 v17, v2, s34
	v_sub_nc_u32_e32 v4, v24, v1
	v_mad_u64_u32 v[0:1], null, v21, s3, v[18:19]
	v_mul_lo_u32 v1, v28, s19
	v_subrev_nc_u32_e32 v5, s21, v20
	v_cmp_gt_i32_e64 s3, s30, v24
	s_and_b32 s6, s2, s6
	v_add_nc_u32_e32 v76, v20, v17
	v_mul_lo_u32 v8, v27, s16
	v_mul_lo_u32 v9, v5, s17
	;; [unrolled: 1-line block ×3, first 2 shown]
	v_sub_nc_u32_e32 v16, v19, v1
	v_cmp_le_i32_e64 s8, s21, v76
	v_cmp_gt_i32_e64 s9, s31, v76
	s_and_b32 s6, s3, s6
	s_and_b32 s3, s4, vcc_lo
	v_sub_nc_u32_e32 v11, v16, v4
	v_mul_lo_u32 v12, v17, s17
	s_and_b32 s8, s8, s9
	v_add3_u32 v8, v8, v10, v9
	s_and_b32 s4, s5, s8
	s_mov_b64 s[8:9], src_private_base
	v_add_nc_u32_e32 v26, s29, v0
	buffer_load_b128 v[0:3], v0, s[40:43], 0 offen
	v_mul_lo_u32 v11, v11, s18
	v_add_nc_u32_e32 v36, s29, v18
	v_lshlrev_b32_e32 v22, 2, v22
	buffer_load_b128 v[4:7], v26, s[40:43], 0 offen
	v_cmp_gt_i32_e64 s2, s63, v25
	v_cmp_gt_i32_e64 s7, s33, v36
	v_lshl_or_b32 v34, v23, 9, v22
	v_add3_u32 v27, v11, v12, v8
	s_clause 0x1
	buffer_load_b128 v[8:11], v8, s[36:39], 0 offen
	buffer_load_b128 v[12:15], v27, s[36:39], 0 offen
	s_waitcnt vmcnt(3)
	v_cndmask_b32_e64 v3, 0, v3, s3
	v_cndmask_b32_e64 v2, 0, v2, s3
	;; [unrolled: 1-line block ×4, first 2 shown]
	s_and_b32 s3, s7, vcc_lo
	v_cmp_gt_i32_e64 s7, s30, v75
	s_waitcnt vmcnt(2)
	v_cndmask_b32_e64 v4, 0, v4, s3
	v_cndmask_b32_e64 v5, 0, v5, s3
	v_perm_b32 v0, v0, v0, 0x3020104
	v_perm_b32 v2, v2, v2, 0x3020104
	v_cndmask_b32_e64 v6, 0, v6, s3
	v_perm_b32 v4, v4, v4, 0x3020104
	v_cndmask_b32_e64 v7, 0, v7, s3
	s_and_b32 s3, s2, s6
	ds_store_2addr_stride64_b32 v34, v0, v1 offset0:64 offset1:66
	ds_store_2addr_stride64_b32 v34, v2, v3 offset0:68 offset1:70
	s_waitcnt vmcnt(1)
	v_cndmask_b32_e64 v1, 0, v11, s3
	ds_store_2addr_stride64_b32 v34, v4, v5 offset0:72 offset1:74
	v_cndmask_b32_e64 v2, 0, v10, s3
	v_cndmask_b32_e64 v3, 0, v9, s3
	;; [unrolled: 1-line block ×3, first 2 shown]
	s_and_b32 s3, s2, s4
	v_perm_b32 v0, v6, v6, 0x3020104
	s_waitcnt vmcnt(0)
	v_cndmask_b32_e64 v6, 0, v12, s3
	v_cndmask_b32_e64 v8, 0, v14, s3
	v_perm_b32 v4, v4, v4, 0x3020104
	v_perm_b32 v2, v2, v2, 0x3020104
	v_cndmask_b32_e64 v9, 0, v13, s3
	v_perm_b32 v6, v6, v6, 0x3020104
	v_cndmask_b32_e64 v5, 0, v15, s3
	v_perm_b32 v8, v8, v8, 0x3020104
	ds_store_2addr_stride64_b32 v34, v0, v7 offset0:76 offset1:78
	ds_store_2addr_stride64_b32 v34, v4, v3 offset1:2
	ds_store_2addr_stride64_b32 v34, v2, v1 offset0:4 offset1:6
	ds_store_2addr_stride64_b32 v34, v6, v9 offset0:8 offset1:10
	;; [unrolled: 1-line block ×3, first 2 shown]
	s_waitcnt lgkmcnt(0)
	s_waitcnt_vscnt null, 0x0
	s_barrier
	s_clause 0x2
	scratch_load_b32 v6, off, off offset:80
	scratch_load_b32 v7, off, off offset:112
	scratch_load_b64 v[4:5], off, off offset:416
	v_mul_hi_u32 v12, v74, s61
	v_mul_hi_u32 v13, v75, s61
	v_cmp_gt_i32_e64 s6, s30, v74
	s_delay_alu instid0(VALU_DEP_3) | instskip(NEXT) | instid1(VALU_DEP_3)
	v_add_nc_u32_e32 v12, v74, v12
	v_add_nc_u32_e32 v13, v75, v13
	s_delay_alu instid0(VALU_DEP_2) | instskip(NEXT) | instid1(VALU_DEP_2)
	v_lshrrev_b32_e32 v14, s60, v12
	v_lshrrev_b32_e32 v17, s60, v13
	s_delay_alu instid0(VALU_DEP_2) | instskip(SKIP_1) | instid1(VALU_DEP_1)
	v_mul_lo_u32 v12, v14, s19
	v_sub_nc_u32_e32 v15, v14, v28
	v_mul_lo_u32 v77, v15, s34
	s_delay_alu instid0(VALU_DEP_4) | instskip(NEXT) | instid1(VALU_DEP_4)
	v_sub_nc_u32_e32 v15, v17, v14
	v_sub_nc_u32_e32 v12, v74, v12
	s_delay_alu instid0(VALU_DEP_2) | instskip(NEXT) | instid1(VALU_DEP_2)
	v_mul_lo_u32 v78, v15, s34
	v_mad_u64_u32 v[13:14], null, v17, s19, v[12:13]
	v_sub_nc_u32_e32 v12, v12, v16
	v_mul_lo_u32 v14, v77, s17
	s_delay_alu instid0(VALU_DEP_2) | instskip(NEXT) | instid1(VALU_DEP_4)
	v_mul_lo_u32 v12, v12, s18
	v_sub_nc_u32_e32 v13, v75, v13
	v_mul_lo_u32 v15, v78, s17
	s_delay_alu instid0(VALU_DEP_2) | instskip(SKIP_3) | instid1(VALU_DEP_4)
	v_mul_lo_u32 v13, v13, s18
	s_getpc_b64 s[18:19]
	s_add_u32 s18, s18, _ZNK2ck6detail15static_for_implINS_8SequenceIJLi1ELi2ELi3ELi4ELi5ELi6ELi7ELi8ELi9ELi10ELi11ELi12ELi13ELi14ELi15EEEEEclIZNKS_80BlockwiseGemmDl_A_BK0_BM_BK1_B_BK0_BN_BK1_C_BM0_BM1_BN0_BN1_pipeline_BM0_2_BN0_2ILi256EaaiKNS_16TensorDescriptorINS_5TupleIJNS_5EmbedINS8_IJNS_17integral_constantIiLi16EEENSA_IiLi128EEENSA_IiLi4EEEEEENS8_IJNSA_IiLi512EEESD_NSA_IiLi1EEEEEELb0EEEEEENS8_IJNS2_IJLi0EEEEEEENS8_IJNS2_IJLi1ELi2ELi3EEEEEEESM_NSA_IlLl8192EEEEESQ_Li4ELi4ELi1ENS2_IJLi8ELi2EEEESR_Li4ELi4ELb0EE3RunINS7_INS8_IJNS_7UnMergeINS8_IJNSA_IiLi2EEESD_SV_SD_EEELb0EEEEEESL_NS8_IJNS2_IJLi1ELi2ELi3ELi4EEEEEEESZ_NSA_IlLl64EEEEENS_13DynamicBufferILNS_16AddressSpaceEnumE2EaSO_Lb1ELNS_22AmdBufferCoherenceEnumE0EiEES16_NS_12StaticBufferILS14_4EiLi64ELb1EEEEEvRKT_RKT0_RKT1_RT2_EUlS19_E_EEvS19_@rel32@lo+4
	s_addc_u32 s19, s19, _ZNK2ck6detail15static_for_implINS_8SequenceIJLi1ELi2ELi3ELi4ELi5ELi6ELi7ELi8ELi9ELi10ELi11ELi12ELi13ELi14ELi15EEEEEclIZNKS_80BlockwiseGemmDl_A_BK0_BM_BK1_B_BK0_BN_BK1_C_BM0_BM1_BN0_BN1_pipeline_BM0_2_BN0_2ILi256EaaiKNS_16TensorDescriptorINS_5TupleIJNS_5EmbedINS8_IJNS_17integral_constantIiLi16EEENSA_IiLi128EEENSA_IiLi4EEEEEENS8_IJNSA_IiLi512EEESD_NSA_IiLi1EEEEEELb0EEEEEENS8_IJNS2_IJLi0EEEEEEENS8_IJNS2_IJLi1ELi2ELi3EEEEEEESM_NSA_IlLl8192EEEEESQ_Li4ELi4ELi1ENS2_IJLi8ELi2EEEESR_Li4ELi4ELb0EE3RunINS7_INS8_IJNS_7UnMergeINS8_IJNSA_IiLi2EEESD_SV_SD_EEELb0EEEEEESL_NS8_IJNS2_IJLi1ELi2ELi3ELi4EEEEEEESZ_NSA_IlLl64EEEEENS_13DynamicBufferILNS_16AddressSpaceEnumE2EaSO_Lb1ELNS_22AmdBufferCoherenceEnumE0EiEES16_NS_12StaticBufferILS14_4EiLi64ELb1EEEEEvRKT_RKT0_RKT1_RT2_EUlS19_E_EEvS19_@rel32@hi+12
	v_add3_u32 v12, v12, v14, v27
	s_delay_alu instid0(VALU_DEP_1)
	v_add3_u32 v16, v13, v15, v12
	s_waitcnt vmcnt(2)
	ds_load_b128 v[0:3], v6
	s_waitcnt vmcnt(1)
	v_ashrrev_i32_e32 v8, 31, v7
	s_waitcnt vmcnt(0)
	v_add_co_u32 v32, s3, v4, v7
	s_clause 0x1
	scratch_store_b128 off, v[38:41], off offset:32
	scratch_store_b128 off, v[38:41], off offset:48
	v_add_co_ci_u32_e64 v33, s3, v5, v8, s3
	ds_load_b128 v[4:7], v6 offset:256
	scratch_store_b128 off, v[38:41], off offset:16
	s_waitcnt lgkmcnt(1)
	scratch_store_b128 off, v[0:3], off
	flat_load_b128 v[8:11], v[32:33]
	s_mul_i32 s3, s14, 12
	s_clause 0x1
	buffer_load_b128 v[12:15], v12, s[36:39], 0 offen
	buffer_load_b128 v[16:19], v16, s[36:39], 0 offen
	v_add_nc_u32_e32 v20, s3, v26
	s_delay_alu instid0(VALU_DEP_1)
	v_add_nc_u32_e32 v24, s29, v20
	s_clause 0x1
	buffer_load_b128 v[20:23], v20, s[40:43], 0 offen
	buffer_load_b128 v[24:27], v24, s[40:43], 0 offen
	s_clause 0x3
	scratch_load_b128 v[28:31], off, off offset:144
	scratch_load_b128 v[42:45], off, off offset:176
	scratch_load_b128 v[46:49], off, off offset:208
	scratch_load_b128 v[50:53], off, off offset:240
	s_waitcnt vmcnt(8) lgkmcnt(0)
	scratch_store_b128 off, v[8:11], off offset:32
	flat_load_b128 v[54:57], v[32:33] offset:256
	s_clause 0x3
	scratch_load_b128 v[58:61], off, off offset:160
	scratch_load_b128 v[62:65], off, off offset:192
	;; [unrolled: 1-line block ×4, first 2 shown]
	v_add_nc_u32_e32 v33, v76, v77
	v_add_nc_u32_e32 v32, s3, v36
	s_clause 0x7
	s_load_b64 s[16:17], s[0:1], 0x1a8
	s_load_b32 s20, s[0:1], 0x1b4
	s_load_b32 s22, s[0:1], 0x1c0
	s_load_b32 s14, s[0:1], 0x1e8
	s_load_b64 s[10:11], s[0:1], 0x158
	s_load_b32 s15, s[0:1], 0x164
	s_load_b32 s28, s[0:1], 0x170
	;; [unrolled: 1-line block ×3, first 2 shown]
	scratch_store_b128 off, v[4:7], off offset:16
	s_waitcnt vmcnt(4) lgkmcnt(0)
	scratch_store_b128 off, v[54:57], off offset:48
	v_add_nc_u32_e32 v36, v33, v78
	v_cmp_le_i32_e64 s1, s21, v33
	v_cmp_gt_i32_e64 s3, s31, v33
	v_cmp_gt_i32_e64 s0, s33, v32
	v_add_nc_u32_e32 v32, s29, v32
	v_cmp_le_i32_e64 s4, s21, v36
	v_cmp_gt_i32_e64 s5, s31, v36
	s_and_b32 s1, s1, s3
	s_and_b32 s0, s0, vcc_lo
	v_cmp_gt_i32_e64 s8, s33, v32
	s_and_b32 s1, s6, s1
	s_and_b32 s3, s4, s5
	;; [unrolled: 1-line block ×4, first 2 shown]
	v_cndmask_b32_e64 v36, 0, v15, s1
	v_cndmask_b32_e64 v74, 0, v14, s1
	;; [unrolled: 1-line block ×4, first 2 shown]
	s_and_b32 s1, s2, s3
	v_dot4_i32_iu8 v12, v0, v8, v28 neg_lo:[1,1,0]
	v_dot4_i32_iu8 v13, v0, v9, v29 neg_lo:[1,1,0]
	;; [unrolled: 1-line block ×4, first 2 shown]
	s_and_b32 vcc_lo, s8, vcc_lo
	s_waitcnt vmcnt(3)
	v_dot4_i32_iu8 v4, v0, v54, v58 neg_lo:[1,1,0]
	v_dot4_i32_iu8 v5, v0, v55, v59 neg_lo:[1,1,0]
	;; [unrolled: 1-line block ×4, first 2 shown]
	v_cndmask_b32_e64 v77, 0, v19, s1
	v_cndmask_b32_e64 v78, 0, v18, s1
	;; [unrolled: 1-line block ×4, first 2 shown]
	v_dot4_i32_iu8 v16, v1, v8, v42 neg_lo:[1,1,0]
	v_dot4_i32_iu8 v17, v1, v9, v43 neg_lo:[1,1,0]
	;; [unrolled: 1-line block ×4, first 2 shown]
	v_dual_cndmask_b32 v85, 0, v27 :: v_dual_cndmask_b32 v86, 0, v26
	v_dual_cndmask_b32 v87, 0, v25 :: v_dual_cndmask_b32 v88, 0, v24
	s_waitcnt vmcnt(2)
	v_dot4_i32_iu8 v24, v1, v54, v62 neg_lo:[1,1,0]
	v_dot4_i32_iu8 v25, v1, v55, v63 neg_lo:[1,1,0]
	;; [unrolled: 1-line block ×4, first 2 shown]
	v_cndmask_b32_e64 v81, 0, v23, s0
	v_cndmask_b32_e64 v82, 0, v22, s0
	v_cndmask_b32_e64 v83, 0, v21, s0
	v_cndmask_b32_e64 v84, 0, v20, s0
	v_dot4_i32_iu8 v20, v2, v8, v46 neg_lo:[1,1,0]
	v_dot4_i32_iu8 v21, v2, v9, v47 neg_lo:[1,1,0]
	v_dot4_i32_iu8 v22, v2, v10, v48 neg_lo:[1,1,0]
	v_dot4_i32_iu8 v23, v2, v11, v49 neg_lo:[1,1,0]
	v_dot4_i32_iu8 v8, v3, v8, v50 neg_lo:[1,1,0]
	v_dot4_i32_iu8 v9, v3, v9, v51 neg_lo:[1,1,0]
	v_dot4_i32_iu8 v10, v3, v10, v52 neg_lo:[1,1,0]
	v_dot4_i32_iu8 v11, v3, v11, v53 neg_lo:[1,1,0]
	s_waitcnt vmcnt(1)
	v_dot4_i32_iu8 v28, v2, v54, v66 neg_lo:[1,1,0]
	v_dot4_i32_iu8 v29, v2, v55, v67 neg_lo:[1,1,0]
	;; [unrolled: 1-line block ×4, first 2 shown]
	s_waitcnt vmcnt(0)
	v_dot4_i32_iu8 v0, v3, v54, v70 neg_lo:[1,1,0]
	v_dot4_i32_iu8 v1, v3, v55, v71 neg_lo:[1,1,0]
	;; [unrolled: 1-line block ×4, first 2 shown]
	s_clause 0x7
	scratch_store_b128 off, v[12:15], off offset:144
	scratch_store_b128 off, v[4:7], off offset:160
	;; [unrolled: 1-line block ×8, first 2 shown]
	v_mov_b32_e32 v0, 64
	v_mov_b32_e32 v2, 0x190
	v_mov_b32_e32 v4, 0
	v_mov_b32_e32 v6, 32
	v_mov_b32_e32 v8, 0x90
	v_dual_mov_b32 v10, 0x1a0 :: v_dual_mov_b32 v1, s9
	v_mov_b32_e32 v3, s9
	v_mov_b32_e32 v5, s9
	;; [unrolled: 1-line block ×5, first 2 shown]
	s_swappc_b64 s[30:31], s[18:19]
	s_clause 0xe
	scratch_load_b32 v54, off, off offset:16
	scratch_load_b32 v55, off, off offset:32
	scratch_load_b128 v[0:3], off, off offset:272
	scratch_load_b128 v[4:7], off, off offset:32
	;; [unrolled: 1-line block ×6, first 2 shown]
	scratch_load_b32 v8, off, off offset:48
	scratch_load_b128 v[24:27], off, off offset:288
	scratch_load_b128 v[28:31], off, off offset:48
	;; [unrolled: 1-line block ×5, first 2 shown]
	scratch_load_b64 v[32:33], off, off offset:432
	v_perm_b32 v56, v76, v76, 0x3020104
	v_perm_b32 v57, v74, v74, 0x3020104
	v_perm_b32 v58, v80, v80, 0x3020104
	v_perm_b32 v59, v78, v78, 0x3020104
	s_waitcnt vmcnt(12)
	v_dot4_i32_iu8 v0, v54, v55, v0 neg_lo:[1,1,0]
	s_waitcnt vmcnt(11)
	v_dot4_i32_iu8 v1, v54, v5, v1 neg_lo:[1,1,0]
	v_dot4_i32_iu8 v2, v54, v6, v2 neg_lo:[1,1,0]
	v_dot4_i32_iu8 v3, v54, v7, v3 neg_lo:[1,1,0]
	s_waitcnt vmcnt(9)
	v_dot4_i32_iu8 v13, v9, v5, v13 neg_lo:[1,1,0]
	v_dot4_i32_iu8 v14, v9, v6, v14 neg_lo:[1,1,0]
	;; [unrolled: 4-line block ×4, first 2 shown]
	v_dot4_i32_iu8 v6, v11, v6, v22 neg_lo:[1,1,0]
	v_dot4_i32_iu8 v7, v11, v7, v23 neg_lo:[1,1,0]
	s_waitcnt vmcnt(5)
	v_dot4_i32_iu8 v20, v54, v8, v24 neg_lo:[1,1,0]
	s_waitcnt vmcnt(4)
	v_dot4_i32_iu8 v21, v54, v29, v25 neg_lo:[1,1,0]
	v_dot4_i32_iu8 v22, v54, v30, v26 neg_lo:[1,1,0]
	;; [unrolled: 1-line block ×4, first 2 shown]
	s_waitcnt vmcnt(3)
	v_dot4_i32_iu8 v24, v9, v8, v42 neg_lo:[1,1,0]
	v_dot4_i32_iu8 v25, v9, v29, v43 neg_lo:[1,1,0]
	;; [unrolled: 1-line block ×4, first 2 shown]
	s_waitcnt vmcnt(0)
	v_add_co_u32 v28, vcc_lo, v32, v34
	v_dot4_i32_iu8 v16, v10, v55, v16 neg_lo:[1,1,0]
	v_dot4_i32_iu8 v42, v10, v8, v46 neg_lo:[1,1,0]
	;; [unrolled: 1-line block ×9, first 2 shown]
	v_add_co_ci_u32_e32 v29, vcc_lo, 0, v33, vcc_lo
	s_clause 0x7
	scratch_store_b128 off, v[0:3], off offset:272
	scratch_store_b128 off, v[20:23], off offset:288
	;; [unrolled: 1-line block ×8, first 2 shown]
	s_clause 0x7
	flat_store_b32 v[28:29], v56
	flat_store_b32 v[28:29], v75 offset:512
	flat_store_b32 v[28:29], v57 offset:1024
	;; [unrolled: 1-line block ×7, first 2 shown]
	scratch_load_b64 v[4:5], off, off offset:448
	v_perm_b32 v2, v84, v84, 0x3020104
	v_perm_b32 v3, v82, v82, 0x3020104
	v_perm_b32 v6, v88, v88, 0x3020104
	v_perm_b32 v7, v86, v86, 0x3020104
	s_waitcnt vmcnt(0)
	v_add_co_u32 v0, vcc_lo, v4, v34
	v_add_co_ci_u32_e32 v1, vcc_lo, 0, v5, vcc_lo
	s_clause 0x7
	flat_store_b32 v[0:1], v2
	flat_store_b32 v[0:1], v83 offset:512
	flat_store_b32 v[0:1], v3 offset:1024
	;; [unrolled: 1-line block ×7, first 2 shown]
	s_waitcnt lgkmcnt(0)
	s_waitcnt_vscnt null, 0x0
	s_barrier
	s_clause 0x1
	scratch_load_b32 v0, off, off offset:80
	scratch_load_b32 v6, off, off offset:112
	s_clause 0x3
	scratch_store_b128 off, v[38:41], off
	scratch_store_b128 off, v[38:41], off offset:16
	scratch_store_b128 off, v[38:41], off offset:32
	;; [unrolled: 1-line block ×3, first 2 shown]
	s_waitcnt vmcnt(1)
	v_ashrrev_i32_e32 v1, 31, v0
	v_add_co_u32 v32, vcc_lo, v32, v0
	s_waitcnt vmcnt(0)
	v_ashrrev_i32_e32 v7, 31, v6
	s_delay_alu instid0(VALU_DEP_3) | instskip(SKIP_1) | instid1(VALU_DEP_3)
	v_add_co_ci_u32_e32 v33, vcc_lo, v33, v1, vcc_lo
	v_add_co_u32 v8, vcc_lo, v4, v6
	v_add_co_ci_u32_e32 v9, vcc_lo, v5, v7, vcc_lo
	flat_load_b128 v[0:3], v[32:33]
	s_waitcnt vmcnt(0) lgkmcnt(0)
	scratch_store_b128 off, v[0:3], off
	flat_load_b128 v[4:7], v[8:9]
	s_waitcnt vmcnt(0) lgkmcnt(0)
	scratch_store_b128 off, v[4:7], off offset:32
	flat_load_b128 v[8:11], v[8:9] offset:256
	s_clause 0x7
	scratch_load_b128 v[12:15], off, off offset:144
	scratch_load_b128 v[16:19], off, off offset:176
	;; [unrolled: 1-line block ×8, first 2 shown]
	s_waitcnt vmcnt(8) lgkmcnt(0)
	scratch_store_b128 off, v[8:11], off offset:48
	flat_load_b128 v[50:53], v[32:33] offset:256
	s_waitcnt vmcnt(8)
	v_dot4_i32_iu8 v12, v0, v4, v12 neg_lo:[1,1,0]
	v_dot4_i32_iu8 v13, v0, v5, v13 neg_lo:[1,1,0]
	v_dot4_i32_iu8 v14, v0, v6, v14 neg_lo:[1,1,0]
	v_dot4_i32_iu8 v15, v0, v7, v15 neg_lo:[1,1,0]
	s_waitcnt vmcnt(7)
	v_dot4_i32_iu8 v16, v1, v4, v16 neg_lo:[1,1,0]
	v_dot4_i32_iu8 v17, v1, v5, v17 neg_lo:[1,1,0]
	v_dot4_i32_iu8 v18, v1, v6, v18 neg_lo:[1,1,0]
	v_dot4_i32_iu8 v19, v1, v7, v19 neg_lo:[1,1,0]
	s_waitcnt vmcnt(6)
	v_dot4_i32_iu8 v20, v2, v4, v20 neg_lo:[1,1,0]
	v_dot4_i32_iu8 v21, v2, v5, v21 neg_lo:[1,1,0]
	v_dot4_i32_iu8 v22, v2, v6, v22 neg_lo:[1,1,0]
	v_dot4_i32_iu8 v23, v2, v7, v23 neg_lo:[1,1,0]
	s_waitcnt vmcnt(5)
	v_dot4_i32_iu8 v4, v3, v4, v24 neg_lo:[1,1,0]
	v_dot4_i32_iu8 v5, v3, v5, v25 neg_lo:[1,1,0]
	v_dot4_i32_iu8 v6, v3, v6, v26 neg_lo:[1,1,0]
	v_dot4_i32_iu8 v7, v3, v7, v27 neg_lo:[1,1,0]
	s_waitcnt vmcnt(4)
	v_dot4_i32_iu8 v24, v0, v8, v28 neg_lo:[1,1,0]
	v_dot4_i32_iu8 v25, v0, v9, v29 neg_lo:[1,1,0]
	v_dot4_i32_iu8 v26, v0, v10, v30 neg_lo:[1,1,0]
	v_dot4_i32_iu8 v27, v0, v11, v31 neg_lo:[1,1,0]
	s_waitcnt vmcnt(3)
	v_dot4_i32_iu8 v28, v1, v8, v38 neg_lo:[1,1,0]
	v_dot4_i32_iu8 v29, v1, v9, v39 neg_lo:[1,1,0]
	v_dot4_i32_iu8 v30, v1, v10, v40 neg_lo:[1,1,0]
	v_dot4_i32_iu8 v31, v1, v11, v41 neg_lo:[1,1,0]
	s_waitcnt vmcnt(2)
	v_dot4_i32_iu8 v38, v2, v8, v42 neg_lo:[1,1,0]
	v_dot4_i32_iu8 v39, v2, v9, v43 neg_lo:[1,1,0]
	v_dot4_i32_iu8 v40, v2, v10, v44 neg_lo:[1,1,0]
	v_dot4_i32_iu8 v41, v2, v11, v45 neg_lo:[1,1,0]
	s_waitcnt vmcnt(1)
	v_dot4_i32_iu8 v0, v3, v8, v46 neg_lo:[1,1,0]
	v_dot4_i32_iu8 v1, v3, v9, v47 neg_lo:[1,1,0]
	v_dot4_i32_iu8 v2, v3, v10, v48 neg_lo:[1,1,0]
	v_dot4_i32_iu8 v3, v3, v11, v49 neg_lo:[1,1,0]
	v_dual_mov_b32 v8, 0x90 :: v_dual_mov_b32 v9, s9
	v_dual_mov_b32 v10, 0x1c0 :: v_dual_mov_b32 v11, s9
	s_clause 0x7
	scratch_store_b128 off, v[12:15], off offset:144
	scratch_store_b128 off, v[24:27], off offset:160
	;; [unrolled: 1-line block ×8, first 2 shown]
	s_waitcnt vmcnt(0) lgkmcnt(0)
	scratch_store_b128 off, v[50:53], off offset:16
	v_dual_mov_b32 v0, 64 :: v_dual_mov_b32 v1, s9
	v_dual_mov_b32 v2, 0x1b0 :: v_dual_mov_b32 v3, s9
	;; [unrolled: 1-line block ×4, first 2 shown]
	s_swappc_b64 s[30:31], s[18:19]
	s_clause 0xd
	scratch_load_b32 v36, off, off offset:16
	scratch_load_b32 v62, off, off offset:32
	scratch_load_b128 v[0:3], off, off offset:272
	scratch_load_b128 v[4:7], off, off offset:32
	;; [unrolled: 1-line block ×6, first 2 shown]
	scratch_load_b32 v38, off, off offset:48
	scratch_load_b128 v[28:31], off, off offset:288
	scratch_load_b128 v[42:45], off, off offset:48
	;; [unrolled: 1-line block ×5, first 2 shown]
	v_add_nc_u32_e32 v53, s23, v35
	v_add_nc_u32_e32 v52, s27, v37
	s_mov_b32 s27, s39
	s_lshl_b32 s3, s11, 6
	s_lshl_b32 s18, s17, 6
	s_waitcnt vmcnt(10)
	v_mul_lo_u32 v4, v53, s10
	v_cmp_gt_i32_e64 s0, s28, v52
	v_cmp_gt_i32_e64 s1, s15, v53
	s_add_i32 s2, s3, s10
	s_add_i32 s21, s17, s16
	s_lshl_b32 s19, s16, 6
	s_delay_alu instid0(VALU_DEP_1)
	s_and_b32 vcc_lo, s1, s0
	v_dot4_i32_iu8 v32, v36, v62, v0 neg_lo:[1,1,0]
	v_mad_u64_u32 v[50:51], null, v52, s11, v[4:5]
	v_dot4_i32_iu8 v33, v36, v5, v1 neg_lo:[1,1,0]
	v_dot4_i32_iu8 v34, v36, v6, v2 neg_lo:[1,1,0]
	;; [unrolled: 1-line block ×3, first 2 shown]
	s_waitcnt vmcnt(4)
	v_dot4_i32_iu8 v28, v36, v38, v28 neg_lo:[1,1,0]
	s_waitcnt vmcnt(3)
	v_dot4_i32_iu8 v29, v36, v43, v29 neg_lo:[1,1,0]
	v_dot4_i32_iu8 v30, v36, v44, v30 neg_lo:[1,1,0]
	;; [unrolled: 1-line block ×11, first 2 shown]
	s_waitcnt vmcnt(2)
	v_dot4_i32_iu8 v20, v39, v38, v46 neg_lo:[1,1,0]
	v_dot4_i32_iu8 v21, v39, v43, v47 neg_lo:[1,1,0]
	;; [unrolled: 1-line block ×8, first 2 shown]
	s_waitcnt vmcnt(1)
	v_dot4_i32_iu8 v12, v40, v38, v54 neg_lo:[1,1,0]
	v_dot4_i32_iu8 v13, v40, v43, v55 neg_lo:[1,1,0]
	;; [unrolled: 1-line block ×4, first 2 shown]
	s_waitcnt vmcnt(0)
	v_dot4_i32_iu8 v4, v41, v38, v58 neg_lo:[1,1,0]
	v_dot4_i32_iu8 v5, v41, v43, v59 neg_lo:[1,1,0]
	;; [unrolled: 1-line block ×4, first 2 shown]
	s_clause 0x7
	scratch_store_b128 off, v[32:35], off offset:272
	scratch_store_b128 off, v[28:31], off offset:288
	;; [unrolled: 1-line block ×8, first 2 shown]
	buffer_load_b32 v36, v50, s[24:27], 0 offen
	scratch_load_b128 v[0:3], off, off offset:144
	s_waitcnt vmcnt(1)
	v_cndmask_b32_e32 v40, 0, v36, vcc_lo
	scratch_load_b128 v[36:39], off, off offset:160
	v_or_b32_e32 v55, 1, v53
	v_or_b32_e32 v68, 2, v53
	;; [unrolled: 1-line block ×3, first 2 shown]
	v_lshrrev_b32_e32 v41, 8, v40
	v_lshrrev_b32_e32 v42, 16, v40
	v_lshrrev_b32_e32 v43, 24, v40
	s_waitcnt vmcnt(1)
	v_add_nc_u16 v0, v40, v0
	v_add_nc_u32_e32 v40, s3, v50
	v_add_nc_u16 v1, v41, v1
	v_add_nc_u16 v2, v42, v2
	;; [unrolled: 1-line block ×3, first 2 shown]
	v_bfe_i32 v0, v0, 0, 8
	s_delay_alu instid0(VALU_DEP_4) | instskip(NEXT) | instid1(VALU_DEP_4)
	v_bfe_i32 v1, v1, 0, 8
	v_bfe_i32 v2, v2, 0, 8
	s_delay_alu instid0(VALU_DEP_4) | instskip(NEXT) | instid1(VALU_DEP_4)
	v_bfe_i32 v3, v3, 0, 8
	v_max_i16 v0, v0, 0
	s_delay_alu instid0(VALU_DEP_4) | instskip(NEXT) | instid1(VALU_DEP_4)
	v_max_i16 v1, v1, 0
	v_max_i16 v54, v2, 0
	s_delay_alu instid0(VALU_DEP_4) | instskip(NEXT) | instid1(VALU_DEP_4)
	v_max_i16 v3, v3, 0
	v_and_b32_e32 v0, 0xffff, v0
	s_delay_alu instid0(VALU_DEP_4) | instskip(NEXT) | instid1(VALU_DEP_4)
	v_and_b32_e32 v1, 0xffff, v1
	v_and_b32_e32 v2, 0xffff, v54
	s_delay_alu instid0(VALU_DEP_4) | instskip(SKIP_4) | instid1(VALU_DEP_2)
	v_and_b32_e32 v3, 0xffff, v3
	scratch_store_b128 off, v[0:3], off offset:144
	buffer_load_b32 v41, v40, s[24:27], 0 offen
	v_add_nc_u32_e32 v2, 64, v52
	v_lshlrev_b32_e32 v3, 24, v3
	v_cmp_gt_i32_e32 vcc_lo, s28, v2
	s_and_b32 s1, s1, vcc_lo
	s_waitcnt vmcnt(0)
	v_cndmask_b32_e64 v41, 0, v41, s1
	s_lshl_b32 s1, s11, 7
	s_delay_alu instid0(SALU_CYCLE_1) | instskip(SKIP_1) | instid1(VALU_DEP_2)
	s_sub_i32 s4, s2, s1
	v_cmp_gt_i32_e64 s1, s15, v55
	v_lshrrev_b32_e32 v42, 8, v41
	v_lshrrev_b32_e32 v43, 16, v41
	;; [unrolled: 1-line block ×3, first 2 shown]
	v_add_nc_u16 v36, v41, v36
	s_and_b32 s2, s1, s0
	v_add_nc_u16 v37, v42, v37
	v_add_nc_u16 v38, v43, v38
	v_add_nc_u16 v39, v44, v39
	v_bfe_i32 v36, v36, 0, 8
	v_add_nc_u32_e32 v44, s4, v40
	v_bfe_i32 v37, v37, 0, 8
	v_bfe_i32 v38, v38, 0, 8
	;; [unrolled: 1-line block ×3, first 2 shown]
	v_max_i16 v36, v36, 0
	scratch_load_b128 v[40:43], off, off offset:176
	v_max_i16 v37, v37, 0
	v_max_i16 v38, v38, 0
	;; [unrolled: 1-line block ×3, first 2 shown]
	v_and_b32_e32 v36, 0xffff, v36
	s_and_b32 s1, s1, vcc_lo
	v_and_b32_e32 v37, 0xffff, v37
	v_and_b32_e32 v38, 0xffff, v38
	;; [unrolled: 1-line block ×3, first 2 shown]
	scratch_store_b128 off, v[36:39], off offset:160
	buffer_load_b32 v36, v44, s[24:27], 0 offen
	s_waitcnt vmcnt(0)
	v_cndmask_b32_e64 v45, 0, v36, s2
	scratch_load_b128 v[36:39], off, off offset:160
	v_lshrrev_b32_e32 v46, 8, v45
	v_lshrrev_b32_e32 v47, 16, v45
	;; [unrolled: 1-line block ×3, first 2 shown]
	v_add_nc_u16 v40, v45, v40
	s_delay_alu instid0(VALU_DEP_4) | instskip(NEXT) | instid1(VALU_DEP_4)
	v_add_nc_u16 v41, v46, v41
	v_add_nc_u16 v42, v47, v42
	s_delay_alu instid0(VALU_DEP_4) | instskip(NEXT) | instid1(VALU_DEP_4)
	v_add_nc_u16 v43, v48, v43
	v_bfe_i32 v40, v40, 0, 8
	v_add_nc_u32_e32 v48, s3, v44
	v_bfe_i32 v41, v41, 0, 8
	v_bfe_i32 v42, v42, 0, 8
	;; [unrolled: 1-line block ×3, first 2 shown]
	v_max_i16 v40, v40, 0
	scratch_load_b128 v[44:47], off, off offset:192
	v_max_i16 v41, v41, 0
	v_max_i16 v42, v42, 0
	;; [unrolled: 1-line block ×3, first 2 shown]
	v_and_b32_e32 v40, 0xffff, v40
	s_delay_alu instid0(VALU_DEP_4) | instskip(NEXT) | instid1(VALU_DEP_4)
	v_and_b32_e32 v41, 0xffff, v41
	v_and_b32_e32 v42, 0xffff, v42
	s_delay_alu instid0(VALU_DEP_4)
	v_and_b32_e32 v43, 0xffff, v43
	scratch_store_b128 off, v[40:43], off offset:176
	buffer_load_b32 v40, v48, s[24:27], 0 offen
	s_waitcnt vmcnt(2)
	v_lshlrev_b32_e32 v37, 8, v37
	v_lshlrev_b32_e32 v38, 16, v38
	;; [unrolled: 1-line block ×3, first 2 shown]
	s_delay_alu instid0(VALU_DEP_3) | instskip(NEXT) | instid1(VALU_DEP_3)
	v_perm_b32 v36, v37, v36, 0xc0c0500
	v_and_b32_e32 v37, 0xff0000, v38
	s_waitcnt vmcnt(0)
	v_cndmask_b32_e64 v49, 0, v40, s1
	scratch_load_b128 v[40:43], off, off offset:176
	v_cmp_gt_i32_e64 s1, s15, v68
	v_lshrrev_b32_e32 v50, 8, v49
	v_lshrrev_b32_e32 v51, 16, v49
	;; [unrolled: 1-line block ×3, first 2 shown]
	v_add_nc_u16 v44, v49, v44
	s_and_b32 s2, s1, s0
	v_add_nc_u16 v45, v50, v45
	v_add_nc_u16 v46, v51, v46
	v_add_nc_u16 v47, v56, v47
	v_bfe_i32 v44, v44, 0, 8
	v_add_nc_u32_e32 v56, s4, v48
	v_bfe_i32 v45, v45, 0, 8
	v_bfe_i32 v46, v46, 0, 8
	;; [unrolled: 1-line block ×3, first 2 shown]
	v_max_i16 v44, v44, 0
	scratch_load_b128 v[48:51], off, off offset:208
	v_max_i16 v45, v45, 0
	v_max_i16 v46, v46, 0
	;; [unrolled: 1-line block ×3, first 2 shown]
	v_and_b32_e32 v44, 0xffff, v44
	s_and_b32 s1, s1, vcc_lo
	v_and_b32_e32 v45, 0xffff, v45
	v_and_b32_e32 v46, 0xffff, v46
	;; [unrolled: 1-line block ×3, first 2 shown]
	scratch_store_b128 off, v[44:47], off offset:192
	buffer_load_b32 v44, v56, s[24:27], 0 offen
	s_waitcnt vmcnt(2)
	v_lshlrev_b32_e32 v41, 8, v41
	v_lshlrev_b32_e32 v42, 16, v42
	s_waitcnt vmcnt(0)
	v_cndmask_b32_e64 v57, 0, v44, s2
	scratch_load_b128 v[44:47], off, off offset:192
	v_lshrrev_b32_e32 v58, 8, v57
	v_lshrrev_b32_e32 v59, 16, v57
	;; [unrolled: 1-line block ×3, first 2 shown]
	v_add_nc_u16 v48, v57, v48
	s_delay_alu instid0(VALU_DEP_4) | instskip(NEXT) | instid1(VALU_DEP_4)
	v_add_nc_u16 v49, v58, v49
	v_add_nc_u16 v50, v59, v50
	s_delay_alu instid0(VALU_DEP_4) | instskip(NEXT) | instid1(VALU_DEP_4)
	v_add_nc_u16 v51, v60, v51
	v_bfe_i32 v48, v48, 0, 8
	v_add_nc_u32_e32 v60, s3, v56
	v_bfe_i32 v49, v49, 0, 8
	v_bfe_i32 v50, v50, 0, 8
	;; [unrolled: 1-line block ×3, first 2 shown]
	v_max_i16 v48, v48, 0
	scratch_load_b128 v[56:59], off, off offset:224
	v_max_i16 v49, v49, 0
	v_max_i16 v50, v50, 0
	;; [unrolled: 1-line block ×3, first 2 shown]
	v_and_b32_e32 v48, 0xffff, v48
	s_delay_alu instid0(VALU_DEP_4) | instskip(NEXT) | instid1(VALU_DEP_4)
	v_and_b32_e32 v49, 0xffff, v49
	v_and_b32_e32 v50, 0xffff, v50
	s_delay_alu instid0(VALU_DEP_4)
	v_and_b32_e32 v51, 0xffff, v51
	scratch_store_b128 off, v[48:51], off offset:208
	buffer_load_b32 v48, v60, s[24:27], 0 offen
	s_waitcnt vmcnt(0)
	v_cndmask_b32_e64 v61, 0, v48, s1
	scratch_load_b128 v[48:51], off, off offset:208
	v_cmp_gt_i32_e64 s1, s15, v69
	v_lshrrev_b32_e32 v62, 8, v61
	v_lshrrev_b32_e32 v63, 16, v61
	;; [unrolled: 1-line block ×3, first 2 shown]
	v_add_nc_u16 v56, v61, v56
	s_and_b32 s2, s1, s0
	v_add_nc_u16 v57, v62, v57
	v_add_nc_u16 v58, v63, v58
	;; [unrolled: 1-line block ×3, first 2 shown]
	v_bfe_i32 v56, v56, 0, 8
	v_add_nc_u32_e32 v64, s4, v60
	v_bfe_i32 v57, v57, 0, 8
	v_bfe_i32 v58, v58, 0, 8
	;; [unrolled: 1-line block ×3, first 2 shown]
	v_max_i16 v56, v56, 0
	s_and_b32 s1, s1, vcc_lo
	v_max_i16 v57, v57, 0
	v_max_i16 v58, v58, 0
	;; [unrolled: 1-line block ×3, first 2 shown]
	v_and_b32_e32 v56, 0xffff, v56
	s_delay_alu instid0(VALU_DEP_4) | instskip(NEXT) | instid1(VALU_DEP_4)
	v_and_b32_e32 v57, 0xffff, v57
	v_and_b32_e32 v58, 0xffff, v58
	s_delay_alu instid0(VALU_DEP_4)
	v_and_b32_e32 v59, 0xffff, v59
	scratch_store_b128 off, v[56:59], off offset:224
	buffer_load_b32 v60, v64, s[24:27], 0 offen
	scratch_load_b128 v[56:59], off, off offset:240
	s_waitcnt vmcnt(1)
	v_cndmask_b32_e64 v65, 0, v60, s2
	scratch_load_b128 v[60:63], off, off offset:224
	v_lshrrev_b32_e32 v66, 8, v65
	v_lshrrev_b32_e32 v67, 16, v65
	;; [unrolled: 1-line block ×3, first 2 shown]
	s_waitcnt vmcnt(1)
	v_add_nc_u16 v56, v65, v56
	v_add_nc_u16 v57, v66, v57
	;; [unrolled: 1-line block ×4, first 2 shown]
	s_delay_alu instid0(VALU_DEP_4)
	v_bfe_i32 v56, v56, 0, 8
	v_add_nc_u32_e32 v70, s3, v64
	v_bfe_i32 v57, v57, 0, 8
	v_bfe_i32 v58, v58, 0, 8
	v_bfe_i32 v59, v59, 0, 8
	v_max_i16 v56, v56, 0
	s_delay_alu instid0(VALU_DEP_4) | instskip(NEXT) | instid1(VALU_DEP_4)
	v_max_i16 v57, v57, 0
	v_max_i16 v58, v58, 0
	s_delay_alu instid0(VALU_DEP_4) | instskip(NEXT) | instid1(VALU_DEP_4)
	v_max_i16 v59, v59, 0
	v_and_b32_e32 v56, 0xffff, v56
	s_delay_alu instid0(VALU_DEP_4) | instskip(NEXT) | instid1(VALU_DEP_4)
	v_and_b32_e32 v57, 0xffff, v57
	v_and_b32_e32 v58, 0xffff, v58
	s_delay_alu instid0(VALU_DEP_4)
	v_and_b32_e32 v59, 0xffff, v59
	scratch_store_b128 off, v[56:59], off offset:240
	buffer_load_b32 v64, v70, s[24:27], 0 offen
	scratch_load_b128 v[56:59], off, off offset:256
	s_waitcnt vmcnt(1)
	v_cndmask_b32_e64 v71, 0, v64, s1
	scratch_load_b128 v[64:67], off, off offset:240
	s_mul_i32 s1, s10, 60
	s_delay_alu instid0(SALU_CYCLE_1)
	v_add3_u32 v70, s4, s1, v70
	v_lshrrev_b32_e32 v72, 8, v71
	v_lshrrev_b32_e32 v73, 16, v71
	v_lshrrev_b32_e32 v74, 24, v71
	s_waitcnt vmcnt(1)
	v_add_nc_u16 v56, v71, v56
	v_add_nc_u32_e32 v71, 64, v53
	v_add_nc_u16 v57, v72, v57
	v_add_nc_u16 v58, v73, v58
	;; [unrolled: 1-line block ×3, first 2 shown]
	v_bfe_i32 v56, v56, 0, 8
	v_cmp_gt_i32_e64 s1, s15, v71
	v_bfe_i32 v57, v57, 0, 8
	v_bfe_i32 v58, v58, 0, 8
	;; [unrolled: 1-line block ×3, first 2 shown]
	v_max_i16 v56, v56, 0
	s_and_b32 s2, s1, s0
	v_max_i16 v57, v57, 0
	v_max_i16 v58, v58, 0
	;; [unrolled: 1-line block ×3, first 2 shown]
	v_and_b32_e32 v56, 0xffff, v56
	s_and_b32 s1, s1, vcc_lo
	v_and_b32_e32 v57, 0xffff, v57
	v_and_b32_e32 v58, 0xffff, v58
	;; [unrolled: 1-line block ×3, first 2 shown]
	v_add_nc_u32_e32 v72, 0x42, v53
	v_add_nc_u32_e32 v73, 0x43, v53
	v_cmp_gt_i32_e64 s11, s20, v71
	scratch_store_b128 off, v[56:59], off offset:256
	buffer_load_b32 v56, v70, s[24:27], 0 offen
	v_cmp_gt_i32_e64 s7, s20, v72
	v_cmp_ge_i32_e64 s8, s20, v72
	v_cmp_gt_i32_e64 s5, s20, v73
	v_cmp_ge_i32_e64 s6, s20, v73
	s_waitcnt vmcnt(0)
	v_cndmask_b32_e64 v56, 0, v56, s2
	s_delay_alu instid0(VALU_DEP_1)
	v_lshrrev_b32_e32 v57, 8, v56
	v_lshrrev_b32_e32 v58, 16, v56
	;; [unrolled: 1-line block ×3, first 2 shown]
	v_add_nc_u16 v32, v56, v32
	v_add_nc_u32_e32 v56, s3, v70
	v_add_nc_u16 v33, v57, v33
	v_add_nc_u16 v34, v58, v34
	;; [unrolled: 1-line block ×3, first 2 shown]
	v_bfe_i32 v32, v32, 0, 8
	v_add_nc_u32_e32 v70, 0x41, v53
	v_bfe_i32 v33, v33, 0, 8
	v_bfe_i32 v34, v34, 0, 8
	;; [unrolled: 1-line block ×3, first 2 shown]
	v_max_i16 v32, v32, 0
	v_cmp_gt_i32_e64 s9, s20, v70
	v_max_i16 v33, v33, 0
	v_max_i16 v34, v34, 0
	;; [unrolled: 1-line block ×3, first 2 shown]
	v_and_b32_e32 v32, 0xffff, v32
	v_cmp_ge_i32_e64 s10, s20, v70
	v_and_b32_e32 v33, 0xffff, v33
	v_and_b32_e32 v34, 0xffff, v34
	v_and_b32_e32 v35, 0xffff, v35
	scratch_store_b128 off, v[32:35], off offset:272
	buffer_load_b32 v32, v56, s[24:27], 0 offen
	s_waitcnt vmcnt(0)
	v_cndmask_b32_e64 v32, 0, v32, s1
	v_cmp_gt_i32_e64 s1, s15, v70
	s_delay_alu instid0(VALU_DEP_2)
	v_lshrrev_b32_e32 v33, 8, v32
	v_lshrrev_b32_e32 v34, 16, v32
	;; [unrolled: 1-line block ×3, first 2 shown]
	v_add_nc_u16 v28, v32, v28
	v_add_nc_u32_e32 v32, s4, v56
	v_add_nc_u16 v29, v33, v29
	v_add_nc_u16 v30, v34, v30
	;; [unrolled: 1-line block ×3, first 2 shown]
	v_bfe_i32 v28, v28, 0, 8
	s_and_b32 s2, s1, s0
	v_bfe_i32 v29, v29, 0, 8
	v_bfe_i32 v30, v30, 0, 8
	;; [unrolled: 1-line block ×3, first 2 shown]
	v_max_i16 v28, v28, 0
	s_and_b32 s1, s1, vcc_lo
	v_max_i16 v29, v29, 0
	v_max_i16 v30, v30, 0
	;; [unrolled: 1-line block ×3, first 2 shown]
	v_and_b32_e32 v28, 0xffff, v28
	s_delay_alu instid0(VALU_DEP_4) | instskip(NEXT) | instid1(VALU_DEP_4)
	v_and_b32_e32 v29, 0xffff, v29
	v_and_b32_e32 v30, 0xffff, v30
	s_delay_alu instid0(VALU_DEP_4) | instskip(SKIP_4) | instid1(VALU_DEP_1)
	v_and_b32_e32 v31, 0xffff, v31
	scratch_store_b128 off, v[28:31], off offset:288
	buffer_load_b32 v28, v32, s[24:27], 0 offen
	s_waitcnt vmcnt(0)
	v_cndmask_b32_e64 v28, 0, v28, s2
	v_lshrrev_b32_e32 v29, 8, v28
	v_lshrrev_b32_e32 v30, 16, v28
	;; [unrolled: 1-line block ×3, first 2 shown]
	v_add_nc_u16 v24, v28, v24
	v_add_nc_u32_e32 v28, s3, v32
	v_add_nc_u16 v25, v29, v25
	v_add_nc_u16 v26, v30, v26
	;; [unrolled: 1-line block ×3, first 2 shown]
	v_bfe_i32 v24, v24, 0, 8
	s_delay_alu instid0(VALU_DEP_4) | instskip(NEXT) | instid1(VALU_DEP_4)
	v_bfe_i32 v25, v25, 0, 8
	v_bfe_i32 v26, v26, 0, 8
	s_delay_alu instid0(VALU_DEP_4) | instskip(NEXT) | instid1(VALU_DEP_4)
	v_bfe_i32 v27, v27, 0, 8
	v_max_i16 v24, v24, 0
	s_delay_alu instid0(VALU_DEP_4) | instskip(NEXT) | instid1(VALU_DEP_4)
	v_max_i16 v25, v25, 0
	v_max_i16 v26, v26, 0
	s_delay_alu instid0(VALU_DEP_4) | instskip(NEXT) | instid1(VALU_DEP_4)
	v_max_i16 v27, v27, 0
	v_and_b32_e32 v24, 0xffff, v24
	s_delay_alu instid0(VALU_DEP_4) | instskip(NEXT) | instid1(VALU_DEP_4)
	v_and_b32_e32 v25, 0xffff, v25
	v_and_b32_e32 v26, 0xffff, v26
	s_delay_alu instid0(VALU_DEP_4)
	v_and_b32_e32 v27, 0xffff, v27
	scratch_store_b128 off, v[24:27], off offset:304
	buffer_load_b32 v24, v28, s[24:27], 0 offen
	s_waitcnt vmcnt(0)
	v_cndmask_b32_e64 v24, 0, v24, s1
	v_cmp_gt_i32_e64 s1, s15, v72
	s_delay_alu instid0(VALU_DEP_2)
	v_lshrrev_b32_e32 v25, 8, v24
	v_lshrrev_b32_e32 v26, 16, v24
	;; [unrolled: 1-line block ×3, first 2 shown]
	v_add_nc_u16 v20, v24, v20
	v_add_nc_u32_e32 v24, s4, v28
	v_add_nc_u16 v21, v25, v21
	v_add_nc_u16 v22, v26, v22
	;; [unrolled: 1-line block ×3, first 2 shown]
	v_bfe_i32 v20, v20, 0, 8
	s_and_b32 s2, s1, s0
	v_bfe_i32 v21, v21, 0, 8
	v_bfe_i32 v22, v22, 0, 8
	;; [unrolled: 1-line block ×3, first 2 shown]
	v_max_i16 v20, v20, 0
	s_and_b32 s1, s1, vcc_lo
	v_max_i16 v21, v21, 0
	v_max_i16 v22, v22, 0
	;; [unrolled: 1-line block ×3, first 2 shown]
	v_and_b32_e32 v20, 0xffff, v20
	s_delay_alu instid0(VALU_DEP_4) | instskip(NEXT) | instid1(VALU_DEP_4)
	v_and_b32_e32 v21, 0xffff, v21
	v_and_b32_e32 v22, 0xffff, v22
	s_delay_alu instid0(VALU_DEP_4)
	v_and_b32_e32 v23, 0xffff, v23
	scratch_store_b128 off, v[20:23], off offset:320
	buffer_load_b32 v20, v24, s[24:27], 0 offen
	s_waitcnt vmcnt(0)
	v_cndmask_b32_e64 v20, 0, v20, s2
	v_cmp_gt_i32_e64 s2, s20, v55
	s_delay_alu instid0(VALU_DEP_2)
	v_lshrrev_b32_e32 v21, 8, v20
	v_lshrrev_b32_e32 v22, 16, v20
	;; [unrolled: 1-line block ×3, first 2 shown]
	v_add_nc_u16 v16, v20, v16
	v_add_nc_u32_e32 v20, s3, v24
	v_add_nc_u16 v17, v21, v17
	v_add_nc_u16 v18, v22, v18
	;; [unrolled: 1-line block ×3, first 2 shown]
	v_bfe_i32 v16, v16, 0, 8
	s_delay_alu instid0(VALU_DEP_4) | instskip(NEXT) | instid1(VALU_DEP_4)
	v_bfe_i32 v17, v17, 0, 8
	v_bfe_i32 v18, v18, 0, 8
	s_delay_alu instid0(VALU_DEP_4) | instskip(NEXT) | instid1(VALU_DEP_4)
	v_bfe_i32 v19, v19, 0, 8
	v_max_i16 v16, v16, 0
	s_delay_alu instid0(VALU_DEP_4) | instskip(NEXT) | instid1(VALU_DEP_4)
	v_max_i16 v17, v17, 0
	v_max_i16 v18, v18, 0
	s_delay_alu instid0(VALU_DEP_4) | instskip(NEXT) | instid1(VALU_DEP_4)
	v_max_i16 v19, v19, 0
	v_and_b32_e32 v16, 0xffff, v16
	s_delay_alu instid0(VALU_DEP_4) | instskip(NEXT) | instid1(VALU_DEP_4)
	v_and_b32_e32 v17, 0xffff, v17
	v_and_b32_e32 v18, 0xffff, v18
	s_delay_alu instid0(VALU_DEP_4)
	v_and_b32_e32 v19, 0xffff, v19
	scratch_store_b128 off, v[16:19], off offset:336
	buffer_load_b32 v16, v20, s[24:27], 0 offen
	s_waitcnt vmcnt(0)
	v_cndmask_b32_e64 v16, 0, v16, s1
	v_cmp_gt_i32_e64 s1, s15, v73
	s_mov_b32 s15, s39
	s_delay_alu instid0(VALU_DEP_2)
	v_lshrrev_b32_e32 v17, 8, v16
	v_lshrrev_b32_e32 v18, 16, v16
	;; [unrolled: 1-line block ×3, first 2 shown]
	v_add_nc_u16 v12, v16, v12
	v_add_nc_u32_e32 v16, s4, v20
	v_add_nc_u16 v13, v17, v13
	v_add_nc_u16 v14, v18, v14
	;; [unrolled: 1-line block ×3, first 2 shown]
	v_bfe_i32 v12, v12, 0, 8
	s_and_b32 s0, s1, s0
	v_bfe_i32 v13, v13, 0, 8
	v_bfe_i32 v14, v14, 0, 8
	;; [unrolled: 1-line block ×3, first 2 shown]
	v_max_i16 v12, v12, 0
	s_and_b32 vcc_lo, s1, vcc_lo
	v_max_i16 v13, v13, 0
	v_max_i16 v14, v14, 0
	;; [unrolled: 1-line block ×3, first 2 shown]
	v_and_b32_e32 v12, 0xffff, v12
	v_cmp_gt_i32_e64 s4, s20, v69
	v_and_b32_e32 v13, 0xffff, v13
	v_and_b32_e32 v14, 0xffff, v14
	;; [unrolled: 1-line block ×3, first 2 shown]
	scratch_store_b128 off, v[12:15], off offset:352
	buffer_load_b32 v12, v16, s[24:27], 0 offen
	s_waitcnt vmcnt(0)
	v_cndmask_b32_e64 v12, 0, v12, s0
	v_cmp_gt_i32_e64 s0, s20, v53
	v_mul_lo_u32 v53, v53, s16
	s_delay_alu instid0(VALU_DEP_3)
	v_lshrrev_b32_e32 v13, 8, v12
	v_lshrrev_b32_e32 v14, 16, v12
	;; [unrolled: 1-line block ×3, first 2 shown]
	v_add_nc_u16 v8, v12, v8
	v_add_nc_u32_e32 v12, s3, v16
	v_add_nc_u16 v9, v13, v9
	v_add_nc_u16 v10, v14, v10
	;; [unrolled: 1-line block ×3, first 2 shown]
	v_bfe_i32 v8, v8, 0, 8
	v_cmp_gt_i32_e64 s3, s20, v68
	v_bfe_i32 v9, v9, 0, 8
	v_bfe_i32 v10, v10, 0, 8
	;; [unrolled: 1-line block ×3, first 2 shown]
	v_max_i16 v8, v8, 0
	v_mad_u64_u32 v[68:69], null, v52, s17, v[53:54]
	v_max_i16 v9, v9, 0
	v_max_i16 v10, v10, 0
	;; [unrolled: 1-line block ×3, first 2 shown]
	v_and_b32_e32 v8, 0xffff, v8
	v_lshlrev_b32_e32 v54, 16, v54
	v_and_b32_e32 v9, 0xffff, v9
	v_and_b32_e32 v10, 0xffff, v10
	;; [unrolled: 1-line block ×3, first 2 shown]
	v_add_nc_u32_e32 v88, s16, v68
	scratch_store_b128 off, v[8:11], off offset:368
	buffer_load_b32 v20, v12, s[24:27], 0 offen
	s_clause 0x2
	scratch_load_b128 v[8:11], off, off offset:256
	scratch_load_b128 v[12:15], off, off offset:272
	scratch_load_b128 v[16:19], off, off offset:304
	s_waitcnt vmcnt(2)
	v_dual_cndmask_b32 v24, 0, v20 :: v_dual_lshlrev_b32 v9, 8, v9
	scratch_load_b128 v[20:23], off, off offset:288
	v_cmp_gt_i32_e32 vcc_lo, s22, v52
	v_add_nc_u32_e32 v52, s18, v68
	v_lshlrev_b32_e32 v10, 16, v10
	v_lshrrev_b32_e32 v25, 8, v24
	v_lshrrev_b32_e32 v28, 16, v24
	v_lshrrev_b32_e32 v32, 24, v24
	v_add_nc_u16 v4, v24, v4
	v_add_nc_u32_e32 v69, s16, v52
	v_add_nc_u16 v5, v25, v5
	v_add_nc_u16 v6, v28, v6
	scratch_load_b128 v[28:31], off, off offset:320
	v_add_nc_u16 v7, v32, v7
	v_bfe_i32 v4, v4, 0, 8
	v_bfe_i32 v5, v5, 0, 8
	;; [unrolled: 1-line block ×3, first 2 shown]
	scratch_load_b128 v[24:27], off, off offset:336
	v_bfe_i32 v32, v7, 0, 8
	v_max_i16 v56, v4, 0
	v_max_i16 v57, v5, 0
	;; [unrolled: 1-line block ×3, first 2 shown]
	scratch_load_b128 v[4:7], off, off offset:368
	v_max_i16 v59, v32, 0
	v_and_b32_e32 v56, 0xffff, v56
	v_and_b32_e32 v57, 0xffff, v57
	;; [unrolled: 1-line block ×3, first 2 shown]
	scratch_load_b128 v[32:35], off, off offset:352
	v_and_b32_e32 v59, 0xffff, v59
	s_and_b32 s1, s0, vcc_lo
	v_add_nc_u32_e32 v72, s16, v69
	v_cndmask_b32_e64 v74, 0x80000000, 0, s1
	v_cmp_gt_i32_e64 s1, s22, v2
	scratch_store_b128 off, v[56:59], off offset:384
	scratch_load_b128 v[56:59], off, off offset:384
	v_add_nc_u32_e32 v76, s16, v72
	v_lshlrev_b32_e32 v11, 24, v11
	s_and_b32 s0, s0, s1
	v_perm_b32 v8, v9, v8, 0xc0c0500
	v_cndmask_b32_e64 v2, 0x80000000, 0, s0
	s_and_b32 s0, s2, s1
	v_subrev_nc_u32_e32 v79, s18, v76
	v_and_b32_e32 v9, 0xff0000, v10
	s_waitcnt vmcnt(7)
	v_lshlrev_b32_e32 v13, 8, v13
	v_lshlrev_b32_e32 v14, 16, v14
	v_cndmask_b32_e64 v53, 0x80000000, 0, s0
	s_and_b32 s0, s2, vcc_lo
	v_lshl_add_u32 v82, s21, 6, v79
	v_cndmask_b32_e64 v55, 0x80000000, 0, s0
	s_and_b32 s0, s3, vcc_lo
	v_or3_b32 v8, v8, v9, v11
	v_cndmask_b32_e64 v70, 0x80000000, 0, s0
	s_and_b32 s0, s3, s1
	v_perm_b32 v11, v13, v12, 0xc0c0500
	v_and_b32_e32 v12, 0xff0000, v14
	s_waitcnt vmcnt(6)
	v_lshlrev_b32_e32 v13, 8, v17
	v_lshlrev_b32_e32 v14, 16, v18
	v_cndmask_b32_e64 v71, 0x80000000, 0, s0
	s_and_b32 s0, s4, s1
	v_lshl_or_b32 v1, v1, 8, v54
	v_cndmask_b32_e64 v73, 0x80000000, 0, s0
	s_and_b32 s0, s4, vcc_lo
	v_subrev_nc_u32_e32 v85, s16, v82
	v_lshlrev_b32_e32 v9, 24, v15
	v_lshlrev_b32_e32 v15, 24, v19
	v_perm_b32 v13, v13, v16, 0xc0c0500
	v_and_b32_e32 v14, 0xff0000, v14
	v_cndmask_b32_e64 v75, 0x80000000, 0, s0
	s_and_b32 s0, s5, vcc_lo
	v_or3_b32 v0, v3, v1, v0
	v_or3_b32 v1, v36, v37, v39
	v_lshlrev_b32_e32 v3, 24, v43
	v_perm_b32 v36, v41, v40, 0xc0c0500
	v_and_b32_e32 v37, 0xff0000, v42
	v_lshlrev_b32_e32 v39, 8, v45
	v_lshlrev_b32_e32 v40, 16, v46
	v_lshlrev_b32_e32 v42, 8, v49
	v_lshlrev_b32_e32 v43, 16, v50
	v_cndmask_b32_e64 v77, 0x80000000, 0, s0
	s_and_b32 s0, s5, s1
	v_subrev_nc_u32_e32 v89, s18, v85
	v_cndmask_b32_e64 v78, 0x80000000, 0, s0
	s_and_b32 s0, s6, s1
	v_or3_b32 v13, v13, v14, v15
	v_cndmask_b32_e64 v80, 0x80000000, 0, s0
	s_and_b32 s0, s7, vcc_lo
	v_lshlrev_b32_e32 v41, 24, v47
	v_perm_b32 v39, v39, v44, 0xc0c0500
	v_and_b32_e32 v40, 0xff0000, v40
	v_lshlrev_b32_e32 v44, 24, v51
	v_perm_b32 v42, v42, v48, 0xc0c0500
	v_and_b32_e32 v43, 0xff0000, v43
	v_cndmask_b32_e64 v81, 0x80000000, 0, s0
	s_and_b32 s0, s8, vcc_lo
	v_add_nc_u32_e32 v2, v2, v52
	v_add_nc_u32_e32 v52, v88, v55
	v_subrev_nc_u32_e32 v55, s16, v89
	v_or3_b32 v3, v36, v37, v3
	v_lshlrev_b32_e32 v36, 8, v61
	v_lshlrev_b32_e32 v37, 16, v62
	v_or3_b32 v9, v11, v12, v9
	v_cndmask_b32_e64 v83, 0x80000000, 0, s0
	s_and_b32 s0, s9, s1
	v_or3_b32 v39, v39, v40, v41
	v_or3_b32 v40, v42, v43, v44
	v_lshlrev_b32_e32 v42, 8, v65
	v_lshlrev_b32_e32 v43, 16, v66
	v_cndmask_b32_e64 v84, 0x80000000, 0, s0
	s_and_b32 s0, s11, vcc_lo
	v_add_nc_u32_e32 v68, v74, v68
	v_cndmask_b32_e64 v86, 0x80000000, 0, s0
	v_add_nc_u32_e32 v53, v53, v69
	v_add_nc_u32_e32 v69, v72, v71
	v_add_nc_u32_e32 v72, s18, v55
	v_lshlrev_b32_e32 v41, 24, v63
	v_perm_b32 v36, v36, v60, 0xc0c0500
	v_and_b32_e32 v37, 0xff0000, v37
	v_lshlrev_b32_e32 v44, 24, v67
	v_perm_b32 v42, v42, v64, 0xc0c0500
	v_and_b32_e32 v43, 0xff0000, v43
	s_and_b32 s0, s10, s1
	buffer_store_b32 v0, v68, s[12:15], 0 offen
	v_cndmask_b32_e64 v87, 0x80000000, 0, s0
	v_subrev_nc_u32_e32 v86, s18, v86
	v_add3_u32 v74, v77, s19, v79
	v_subrev_nc_u32_e32 v77, s16, v72
	v_or3_b32 v10, v36, v37, v41
	v_add_nc_u32_e32 v71, v76, v73
	v_add_nc_u32_e32 v73, v79, v75
	v_or3_b32 v36, v42, v43, v44
	v_add3_u32 v70, v70, s16, v88
	v_add_nc_u32_e32 v75, v82, v78
	v_add_nc_u32_e32 v76, v85, v80
	;; [unrolled: 1-line block ×7, first 2 shown]
	s_clause 0x3
	buffer_store_b32 v1, v2, s[12:15], 0 offen
	buffer_store_b32 v39, v53, s[12:15], 0 offen
	;; [unrolled: 1-line block ×4, first 2 shown]
	s_waitcnt vmcnt(5)
	v_lshlrev_b32_e32 v17, 8, v21
	v_lshlrev_b32_e32 v18, 16, v22
	;; [unrolled: 1-line block ×3, first 2 shown]
	s_delay_alu instid0(VALU_DEP_3) | instskip(NEXT) | instid1(VALU_DEP_3)
	v_perm_b32 v12, v17, v20, 0xc0c0500
	v_and_b32_e32 v16, 0xff0000, v18
	s_waitcnt vmcnt(4)
	v_lshlrev_b32_e32 v18, 8, v29
	v_lshlrev_b32_e32 v19, 16, v30
	s_delay_alu instid0(VALU_DEP_3)
	v_or3_b32 v11, v12, v16, v11
	v_lshlrev_b32_e32 v12, 24, v31
	s_waitcnt vmcnt(3)
	v_lshlrev_b32_e32 v14, 8, v25
	v_lshlrev_b32_e32 v15, 16, v26
	;; [unrolled: 1-line block ×3, first 2 shown]
	v_perm_b32 v16, v18, v28, 0xc0c0500
	v_and_b32_e32 v18, 0xff0000, v19
	s_waitcnt vmcnt(2)
	v_lshlrev_b32_e32 v5, 8, v5
	v_lshlrev_b32_e32 v6, 16, v6
	v_lshlrev_b32_e32 v7, 24, v7
	v_perm_b32 v14, v14, v24, 0xc0c0500
	v_and_b32_e32 v15, 0xff0000, v15
	v_perm_b32 v4, v5, v4, 0xc0c0500
	v_and_b32_e32 v5, 0xff0000, v6
	s_waitcnt vmcnt(1)
	v_lshlrev_b32_e32 v6, 24, v35
	v_or3_b32 v12, v16, v18, v12
	v_or3_b32 v14, v14, v15, v17
	v_lshlrev_b32_e32 v15, 8, v33
	v_or3_b32 v4, v4, v5, v7
	s_waitcnt vmcnt(0)
	v_lshlrev_b32_e32 v5, 8, v57
	v_lshlrev_b32_e32 v7, 16, v58
	;; [unrolled: 1-line block ×4, first 2 shown]
	v_perm_b32 v15, v15, v32, 0xc0c0500
	v_perm_b32 v5, v5, v56, 0xc0c0500
	v_and_b32_e32 v7, 0xff0000, v7
	v_and_b32_e32 v17, 0xff0000, v17
	s_delay_alu instid0(VALU_DEP_2) | instskip(NEXT) | instid1(VALU_DEP_2)
	v_or3_b32 v0, v5, v7, v0
	v_or3_b32 v6, v15, v17, v6
	s_clause 0xa
	buffer_store_b32 v10, v69, s[12:15], 0 offen
	buffer_store_b32 v8, v71, s[12:15], 0 offen
	;; [unrolled: 1-line block ×11, first 2 shown]
	s_endpgm
	.section	.rodata,"a",@progbits
	.p2align	6, 0x0
	.amdhsa_kernel _ZN2ck16tensor_operation6device12_GLOBAL__N_137kernel_grouped_conv_fwd_dl_multiple_dINS_32GridwiseGemmDlMultipleD_km_kn_mnILi256EaiNS_5TupleIJaEEEaNS0_12element_wise11PassThroughES8_NS7_7AddReluELNS_25InMemoryDataOperationEnumE0ENS_16TensorDescriptorINS5_IJNS_5EmbedINS5_IJiiiEEESD_Lb0EEENS_11PassThroughIiEENS_3PadIiiiLb0EEESG_SG_NSC_INS5_IJiiEEESJ_Lb0EEESG_NS_23Merge_v2_magic_divisionISJ_EESM_NS_8RightPadIiiLb0EEESO_NS_7UnMergeISJ_Lb0EEESG_EEENS5_IJNS_8SequenceIJLi0EEEENSS_IJLi1EEEENSS_IJLi2EEEENSS_IJLi3EEEENSS_IJLi4EEEENSS_IJLi5EEEENSS_IJLi6EEEENSS_IJLi7ELi9EEEENSS_IJLi8ELi10EEEENSS_IJLi11EEEENSS_IJLi12EEEENSS_IJLi14EEEENSS_IJLi13EEEEEEENS5_IJNSS_IJLi1ELi2ELi3EEEESX_SY_SZ_NSS_IJLi7EEEENSS_IJLi8ELi9EEEENSS_IJLi10EEEES12_S13_S15_S14_NSS_IJLi15ELi16EEEENSS_IJLi17EEEEEEENSS_IJLi15ELi17ELi16EEEElEENSB_INS5_IJSQ_SO_SO_SQ_SG_EEENS5_IJST_SU_SV_SX_SW_EEENS5_IJNSS_IJLi1ELi2EEEESW_SX_NSS_IJLi5ELi6EEEES18_EEENSS_IJLi5ELi7ELi6EEEElEENSB_INS5_IJSK_SO_SO_EEENS5_IJST_SU_SV_EEENS5_IJS1I_SW_SX_EEENSS_IJLi3ELi4EEEElEELi128ELi128ELi16ELi4ELi4ELi4ELi1ENSS_IJLi8ELi2EEEES1S_NSS_IJLi8ELi1ELi1ELi4EEEENSS_IJLi2ELi1ELi128ELi1EEEENSS_IJLi1ELi2ELi0ELi3EEEES1V_NSS_IJLi4ELi1ELi1ELi4EEEES1V_NSS_IJLi1ELi1ELi1ELi4EEEES1T_S1U_S1V_S1V_S1W_S1V_S1X_NSS_IJLi0ELi1ELi2ELi3ELi4ELi5EEEELi5ELi4EEEaNS5_IJPKaEEEaS8_S8_S9_NSB_INS5_IJSE_SG_SI_SG_SG_SK_SG_SM_SM_SO_SO_SQ_SG_SG_NSP_INS5_IJiNS_17integral_constantIiLi128EEEEEELb0EEENSF_INS23_IiLi4EEEEEEEENS5_IJST_SU_SV_SW_SX_SY_SZ_S10_S11_S12_S13_S14_S15_NSS_IJLi15EEEES1C_NSS_IJLi16EEEEEEENS5_IJS17_SX_SY_SZ_S18_S19_S1A_S12_S13_S15_S14_S1B_S1C_NSS_IJLi18EEEENSS_IJLi19ELi20EEEENSS_IJLi21EEEEEEENSS_IJLi18ELi19ELi20ELi21EEEElEENSB_INS5_IJSQ_SO_SO_SQ_SG_SG_S26_S28_EEENS5_IJST_SU_SV_SX_SW_SY_S18_SZ_EEENS5_IJS1I_SW_SX_S1J_S18_NSS_IJLi8EEEENSS_IJLi9ELi10EEEES12_EEENSS_IJLi8ELi9ELi10ELi11EEEElEENS5_IJNSB_INS5_IJSK_SO_SO_NSP_INS5_IJiNS23_IiLi2EEENS23_IiLi64EEEEEELb0EEES2T_EEENS5_IJST_SU_SV_SW_SX_EEENS5_IJS1I_SW_SX_NSS_IJLi5ELi6ELi7EEEENSS_IJLi8ELi9ELi10EEEEEEENSS_IJLi5ELi6ELi7ELi8ELi9ELi10EEEElEEEEES30_NS_31BlockToCTileMap_M00_N00_M01_N01ILi128ELi128ES1R_Lb0EEENS1_30ComputePtrOffsetOfStridedBatchILi1ELi1ELi1EvEELb0ELb1EEEvPKT0_S38_T1_PT2_T3_T4_T5_iT6_T7_T8_T9_T10_T11_
		.amdhsa_group_segment_fixed_size 32768
		.amdhsa_private_segment_fixed_size 480
		.amdhsa_kernarg_size 904
		.amdhsa_user_sgpr_count 15
		.amdhsa_user_sgpr_dispatch_ptr 0
		.amdhsa_user_sgpr_queue_ptr 0
		.amdhsa_user_sgpr_kernarg_segment_ptr 1
		.amdhsa_user_sgpr_dispatch_id 0
		.amdhsa_user_sgpr_private_segment_size 0
		.amdhsa_wavefront_size32 1
		.amdhsa_uses_dynamic_stack 0
		.amdhsa_enable_private_segment 1
		.amdhsa_system_sgpr_workgroup_id_x 1
		.amdhsa_system_sgpr_workgroup_id_y 0
		.amdhsa_system_sgpr_workgroup_id_z 0
		.amdhsa_system_sgpr_workgroup_info 0
		.amdhsa_system_vgpr_workitem_id 0
		.amdhsa_next_free_vgpr 90
		.amdhsa_next_free_sgpr 67
		.amdhsa_reserve_vcc 1
		.amdhsa_float_round_mode_32 0
		.amdhsa_float_round_mode_16_64 0
		.amdhsa_float_denorm_mode_32 3
		.amdhsa_float_denorm_mode_16_64 3
		.amdhsa_dx10_clamp 1
		.amdhsa_ieee_mode 1
		.amdhsa_fp16_overflow 0
		.amdhsa_workgroup_processor_mode 1
		.amdhsa_memory_ordered 1
		.amdhsa_forward_progress 0
		.amdhsa_shared_vgpr_count 0
		.amdhsa_exception_fp_ieee_invalid_op 0
		.amdhsa_exception_fp_denorm_src 0
		.amdhsa_exception_fp_ieee_div_zero 0
		.amdhsa_exception_fp_ieee_overflow 0
		.amdhsa_exception_fp_ieee_underflow 0
		.amdhsa_exception_fp_ieee_inexact 0
		.amdhsa_exception_int_div_zero 0
	.end_amdhsa_kernel
	.section	.text._ZN2ck16tensor_operation6device12_GLOBAL__N_137kernel_grouped_conv_fwd_dl_multiple_dINS_32GridwiseGemmDlMultipleD_km_kn_mnILi256EaiNS_5TupleIJaEEEaNS0_12element_wise11PassThroughES8_NS7_7AddReluELNS_25InMemoryDataOperationEnumE0ENS_16TensorDescriptorINS5_IJNS_5EmbedINS5_IJiiiEEESD_Lb0EEENS_11PassThroughIiEENS_3PadIiiiLb0EEESG_SG_NSC_INS5_IJiiEEESJ_Lb0EEESG_NS_23Merge_v2_magic_divisionISJ_EESM_NS_8RightPadIiiLb0EEESO_NS_7UnMergeISJ_Lb0EEESG_EEENS5_IJNS_8SequenceIJLi0EEEENSS_IJLi1EEEENSS_IJLi2EEEENSS_IJLi3EEEENSS_IJLi4EEEENSS_IJLi5EEEENSS_IJLi6EEEENSS_IJLi7ELi9EEEENSS_IJLi8ELi10EEEENSS_IJLi11EEEENSS_IJLi12EEEENSS_IJLi14EEEENSS_IJLi13EEEEEEENS5_IJNSS_IJLi1ELi2ELi3EEEESX_SY_SZ_NSS_IJLi7EEEENSS_IJLi8ELi9EEEENSS_IJLi10EEEES12_S13_S15_S14_NSS_IJLi15ELi16EEEENSS_IJLi17EEEEEEENSS_IJLi15ELi17ELi16EEEElEENSB_INS5_IJSQ_SO_SO_SQ_SG_EEENS5_IJST_SU_SV_SX_SW_EEENS5_IJNSS_IJLi1ELi2EEEESW_SX_NSS_IJLi5ELi6EEEES18_EEENSS_IJLi5ELi7ELi6EEEElEENSB_INS5_IJSK_SO_SO_EEENS5_IJST_SU_SV_EEENS5_IJS1I_SW_SX_EEENSS_IJLi3ELi4EEEElEELi128ELi128ELi16ELi4ELi4ELi4ELi1ENSS_IJLi8ELi2EEEES1S_NSS_IJLi8ELi1ELi1ELi4EEEENSS_IJLi2ELi1ELi128ELi1EEEENSS_IJLi1ELi2ELi0ELi3EEEES1V_NSS_IJLi4ELi1ELi1ELi4EEEES1V_NSS_IJLi1ELi1ELi1ELi4EEEES1T_S1U_S1V_S1V_S1W_S1V_S1X_NSS_IJLi0ELi1ELi2ELi3ELi4ELi5EEEELi5ELi4EEEaNS5_IJPKaEEEaS8_S8_S9_NSB_INS5_IJSE_SG_SI_SG_SG_SK_SG_SM_SM_SO_SO_SQ_SG_SG_NSP_INS5_IJiNS_17integral_constantIiLi128EEEEEELb0EEENSF_INS23_IiLi4EEEEEEEENS5_IJST_SU_SV_SW_SX_SY_SZ_S10_S11_S12_S13_S14_S15_NSS_IJLi15EEEES1C_NSS_IJLi16EEEEEEENS5_IJS17_SX_SY_SZ_S18_S19_S1A_S12_S13_S15_S14_S1B_S1C_NSS_IJLi18EEEENSS_IJLi19ELi20EEEENSS_IJLi21EEEEEEENSS_IJLi18ELi19ELi20ELi21EEEElEENSB_INS5_IJSQ_SO_SO_SQ_SG_SG_S26_S28_EEENS5_IJST_SU_SV_SX_SW_SY_S18_SZ_EEENS5_IJS1I_SW_SX_S1J_S18_NSS_IJLi8EEEENSS_IJLi9ELi10EEEES12_EEENSS_IJLi8ELi9ELi10ELi11EEEElEENS5_IJNSB_INS5_IJSK_SO_SO_NSP_INS5_IJiNS23_IiLi2EEENS23_IiLi64EEEEEELb0EEES2T_EEENS5_IJST_SU_SV_SW_SX_EEENS5_IJS1I_SW_SX_NSS_IJLi5ELi6ELi7EEEENSS_IJLi8ELi9ELi10EEEEEEENSS_IJLi5ELi6ELi7ELi8ELi9ELi10EEEElEEEEES30_NS_31BlockToCTileMap_M00_N00_M01_N01ILi128ELi128ES1R_Lb0EEENS1_30ComputePtrOffsetOfStridedBatchILi1ELi1ELi1EvEELb0ELb1EEEvPKT0_S38_T1_PT2_T3_T4_T5_iT6_T7_T8_T9_T10_T11_,"axG",@progbits,_ZN2ck16tensor_operation6device12_GLOBAL__N_137kernel_grouped_conv_fwd_dl_multiple_dINS_32GridwiseGemmDlMultipleD_km_kn_mnILi256EaiNS_5TupleIJaEEEaNS0_12element_wise11PassThroughES8_NS7_7AddReluELNS_25InMemoryDataOperationEnumE0ENS_16TensorDescriptorINS5_IJNS_5EmbedINS5_IJiiiEEESD_Lb0EEENS_11PassThroughIiEENS_3PadIiiiLb0EEESG_SG_NSC_INS5_IJiiEEESJ_Lb0EEESG_NS_23Merge_v2_magic_divisionISJ_EESM_NS_8RightPadIiiLb0EEESO_NS_7UnMergeISJ_Lb0EEESG_EEENS5_IJNS_8SequenceIJLi0EEEENSS_IJLi1EEEENSS_IJLi2EEEENSS_IJLi3EEEENSS_IJLi4EEEENSS_IJLi5EEEENSS_IJLi6EEEENSS_IJLi7ELi9EEEENSS_IJLi8ELi10EEEENSS_IJLi11EEEENSS_IJLi12EEEENSS_IJLi14EEEENSS_IJLi13EEEEEEENS5_IJNSS_IJLi1ELi2ELi3EEEESX_SY_SZ_NSS_IJLi7EEEENSS_IJLi8ELi9EEEENSS_IJLi10EEEES12_S13_S15_S14_NSS_IJLi15ELi16EEEENSS_IJLi17EEEEEEENSS_IJLi15ELi17ELi16EEEElEENSB_INS5_IJSQ_SO_SO_SQ_SG_EEENS5_IJST_SU_SV_SX_SW_EEENS5_IJNSS_IJLi1ELi2EEEESW_SX_NSS_IJLi5ELi6EEEES18_EEENSS_IJLi5ELi7ELi6EEEElEENSB_INS5_IJSK_SO_SO_EEENS5_IJST_SU_SV_EEENS5_IJS1I_SW_SX_EEENSS_IJLi3ELi4EEEElEELi128ELi128ELi16ELi4ELi4ELi4ELi1ENSS_IJLi8ELi2EEEES1S_NSS_IJLi8ELi1ELi1ELi4EEEENSS_IJLi2ELi1ELi128ELi1EEEENSS_IJLi1ELi2ELi0ELi3EEEES1V_NSS_IJLi4ELi1ELi1ELi4EEEES1V_NSS_IJLi1ELi1ELi1ELi4EEEES1T_S1U_S1V_S1V_S1W_S1V_S1X_NSS_IJLi0ELi1ELi2ELi3ELi4ELi5EEEELi5ELi4EEEaNS5_IJPKaEEEaS8_S8_S9_NSB_INS5_IJSE_SG_SI_SG_SG_SK_SG_SM_SM_SO_SO_SQ_SG_SG_NSP_INS5_IJiNS_17integral_constantIiLi128EEEEEELb0EEENSF_INS23_IiLi4EEEEEEEENS5_IJST_SU_SV_SW_SX_SY_SZ_S10_S11_S12_S13_S14_S15_NSS_IJLi15EEEES1C_NSS_IJLi16EEEEEEENS5_IJS17_SX_SY_SZ_S18_S19_S1A_S12_S13_S15_S14_S1B_S1C_NSS_IJLi18EEEENSS_IJLi19ELi20EEEENSS_IJLi21EEEEEEENSS_IJLi18ELi19ELi20ELi21EEEElEENSB_INS5_IJSQ_SO_SO_SQ_SG_SG_S26_S28_EEENS5_IJST_SU_SV_SX_SW_SY_S18_SZ_EEENS5_IJS1I_SW_SX_S1J_S18_NSS_IJLi8EEEENSS_IJLi9ELi10EEEES12_EEENSS_IJLi8ELi9ELi10ELi11EEEElEENS5_IJNSB_INS5_IJSK_SO_SO_NSP_INS5_IJiNS23_IiLi2EEENS23_IiLi64EEEEEELb0EEES2T_EEENS5_IJST_SU_SV_SW_SX_EEENS5_IJS1I_SW_SX_NSS_IJLi5ELi6ELi7EEEENSS_IJLi8ELi9ELi10EEEEEEENSS_IJLi5ELi6ELi7ELi8ELi9ELi10EEEElEEEEES30_NS_31BlockToCTileMap_M00_N00_M01_N01ILi128ELi128ES1R_Lb0EEENS1_30ComputePtrOffsetOfStridedBatchILi1ELi1ELi1EvEELb0ELb1EEEvPKT0_S38_T1_PT2_T3_T4_T5_iT6_T7_T8_T9_T10_T11_,comdat
.Lfunc_end4:
	.size	_ZN2ck16tensor_operation6device12_GLOBAL__N_137kernel_grouped_conv_fwd_dl_multiple_dINS_32GridwiseGemmDlMultipleD_km_kn_mnILi256EaiNS_5TupleIJaEEEaNS0_12element_wise11PassThroughES8_NS7_7AddReluELNS_25InMemoryDataOperationEnumE0ENS_16TensorDescriptorINS5_IJNS_5EmbedINS5_IJiiiEEESD_Lb0EEENS_11PassThroughIiEENS_3PadIiiiLb0EEESG_SG_NSC_INS5_IJiiEEESJ_Lb0EEESG_NS_23Merge_v2_magic_divisionISJ_EESM_NS_8RightPadIiiLb0EEESO_NS_7UnMergeISJ_Lb0EEESG_EEENS5_IJNS_8SequenceIJLi0EEEENSS_IJLi1EEEENSS_IJLi2EEEENSS_IJLi3EEEENSS_IJLi4EEEENSS_IJLi5EEEENSS_IJLi6EEEENSS_IJLi7ELi9EEEENSS_IJLi8ELi10EEEENSS_IJLi11EEEENSS_IJLi12EEEENSS_IJLi14EEEENSS_IJLi13EEEEEEENS5_IJNSS_IJLi1ELi2ELi3EEEESX_SY_SZ_NSS_IJLi7EEEENSS_IJLi8ELi9EEEENSS_IJLi10EEEES12_S13_S15_S14_NSS_IJLi15ELi16EEEENSS_IJLi17EEEEEEENSS_IJLi15ELi17ELi16EEEElEENSB_INS5_IJSQ_SO_SO_SQ_SG_EEENS5_IJST_SU_SV_SX_SW_EEENS5_IJNSS_IJLi1ELi2EEEESW_SX_NSS_IJLi5ELi6EEEES18_EEENSS_IJLi5ELi7ELi6EEEElEENSB_INS5_IJSK_SO_SO_EEENS5_IJST_SU_SV_EEENS5_IJS1I_SW_SX_EEENSS_IJLi3ELi4EEEElEELi128ELi128ELi16ELi4ELi4ELi4ELi1ENSS_IJLi8ELi2EEEES1S_NSS_IJLi8ELi1ELi1ELi4EEEENSS_IJLi2ELi1ELi128ELi1EEEENSS_IJLi1ELi2ELi0ELi3EEEES1V_NSS_IJLi4ELi1ELi1ELi4EEEES1V_NSS_IJLi1ELi1ELi1ELi4EEEES1T_S1U_S1V_S1V_S1W_S1V_S1X_NSS_IJLi0ELi1ELi2ELi3ELi4ELi5EEEELi5ELi4EEEaNS5_IJPKaEEEaS8_S8_S9_NSB_INS5_IJSE_SG_SI_SG_SG_SK_SG_SM_SM_SO_SO_SQ_SG_SG_NSP_INS5_IJiNS_17integral_constantIiLi128EEEEEELb0EEENSF_INS23_IiLi4EEEEEEEENS5_IJST_SU_SV_SW_SX_SY_SZ_S10_S11_S12_S13_S14_S15_NSS_IJLi15EEEES1C_NSS_IJLi16EEEEEEENS5_IJS17_SX_SY_SZ_S18_S19_S1A_S12_S13_S15_S14_S1B_S1C_NSS_IJLi18EEEENSS_IJLi19ELi20EEEENSS_IJLi21EEEEEEENSS_IJLi18ELi19ELi20ELi21EEEElEENSB_INS5_IJSQ_SO_SO_SQ_SG_SG_S26_S28_EEENS5_IJST_SU_SV_SX_SW_SY_S18_SZ_EEENS5_IJS1I_SW_SX_S1J_S18_NSS_IJLi8EEEENSS_IJLi9ELi10EEEES12_EEENSS_IJLi8ELi9ELi10ELi11EEEElEENS5_IJNSB_INS5_IJSK_SO_SO_NSP_INS5_IJiNS23_IiLi2EEENS23_IiLi64EEEEEELb0EEES2T_EEENS5_IJST_SU_SV_SW_SX_EEENS5_IJS1I_SW_SX_NSS_IJLi5ELi6ELi7EEEENSS_IJLi8ELi9ELi10EEEEEEENSS_IJLi5ELi6ELi7ELi8ELi9ELi10EEEElEEEEES30_NS_31BlockToCTileMap_M00_N00_M01_N01ILi128ELi128ES1R_Lb0EEENS1_30ComputePtrOffsetOfStridedBatchILi1ELi1ELi1EvEELb0ELb1EEEvPKT0_S38_T1_PT2_T3_T4_T5_iT6_T7_T8_T9_T10_T11_, .Lfunc_end4-_ZN2ck16tensor_operation6device12_GLOBAL__N_137kernel_grouped_conv_fwd_dl_multiple_dINS_32GridwiseGemmDlMultipleD_km_kn_mnILi256EaiNS_5TupleIJaEEEaNS0_12element_wise11PassThroughES8_NS7_7AddReluELNS_25InMemoryDataOperationEnumE0ENS_16TensorDescriptorINS5_IJNS_5EmbedINS5_IJiiiEEESD_Lb0EEENS_11PassThroughIiEENS_3PadIiiiLb0EEESG_SG_NSC_INS5_IJiiEEESJ_Lb0EEESG_NS_23Merge_v2_magic_divisionISJ_EESM_NS_8RightPadIiiLb0EEESO_NS_7UnMergeISJ_Lb0EEESG_EEENS5_IJNS_8SequenceIJLi0EEEENSS_IJLi1EEEENSS_IJLi2EEEENSS_IJLi3EEEENSS_IJLi4EEEENSS_IJLi5EEEENSS_IJLi6EEEENSS_IJLi7ELi9EEEENSS_IJLi8ELi10EEEENSS_IJLi11EEEENSS_IJLi12EEEENSS_IJLi14EEEENSS_IJLi13EEEEEEENS5_IJNSS_IJLi1ELi2ELi3EEEESX_SY_SZ_NSS_IJLi7EEEENSS_IJLi8ELi9EEEENSS_IJLi10EEEES12_S13_S15_S14_NSS_IJLi15ELi16EEEENSS_IJLi17EEEEEEENSS_IJLi15ELi17ELi16EEEElEENSB_INS5_IJSQ_SO_SO_SQ_SG_EEENS5_IJST_SU_SV_SX_SW_EEENS5_IJNSS_IJLi1ELi2EEEESW_SX_NSS_IJLi5ELi6EEEES18_EEENSS_IJLi5ELi7ELi6EEEElEENSB_INS5_IJSK_SO_SO_EEENS5_IJST_SU_SV_EEENS5_IJS1I_SW_SX_EEENSS_IJLi3ELi4EEEElEELi128ELi128ELi16ELi4ELi4ELi4ELi1ENSS_IJLi8ELi2EEEES1S_NSS_IJLi8ELi1ELi1ELi4EEEENSS_IJLi2ELi1ELi128ELi1EEEENSS_IJLi1ELi2ELi0ELi3EEEES1V_NSS_IJLi4ELi1ELi1ELi4EEEES1V_NSS_IJLi1ELi1ELi1ELi4EEEES1T_S1U_S1V_S1V_S1W_S1V_S1X_NSS_IJLi0ELi1ELi2ELi3ELi4ELi5EEEELi5ELi4EEEaNS5_IJPKaEEEaS8_S8_S9_NSB_INS5_IJSE_SG_SI_SG_SG_SK_SG_SM_SM_SO_SO_SQ_SG_SG_NSP_INS5_IJiNS_17integral_constantIiLi128EEEEEELb0EEENSF_INS23_IiLi4EEEEEEEENS5_IJST_SU_SV_SW_SX_SY_SZ_S10_S11_S12_S13_S14_S15_NSS_IJLi15EEEES1C_NSS_IJLi16EEEEEEENS5_IJS17_SX_SY_SZ_S18_S19_S1A_S12_S13_S15_S14_S1B_S1C_NSS_IJLi18EEEENSS_IJLi19ELi20EEEENSS_IJLi21EEEEEEENSS_IJLi18ELi19ELi20ELi21EEEElEENSB_INS5_IJSQ_SO_SO_SQ_SG_SG_S26_S28_EEENS5_IJST_SU_SV_SX_SW_SY_S18_SZ_EEENS5_IJS1I_SW_SX_S1J_S18_NSS_IJLi8EEEENSS_IJLi9ELi10EEEES12_EEENSS_IJLi8ELi9ELi10ELi11EEEElEENS5_IJNSB_INS5_IJSK_SO_SO_NSP_INS5_IJiNS23_IiLi2EEENS23_IiLi64EEEEEELb0EEES2T_EEENS5_IJST_SU_SV_SW_SX_EEENS5_IJS1I_SW_SX_NSS_IJLi5ELi6ELi7EEEENSS_IJLi8ELi9ELi10EEEEEEENSS_IJLi5ELi6ELi7ELi8ELi9ELi10EEEElEEEEES30_NS_31BlockToCTileMap_M00_N00_M01_N01ILi128ELi128ES1R_Lb0EEENS1_30ComputePtrOffsetOfStridedBatchILi1ELi1ELi1EvEELb0ELb1EEEvPKT0_S38_T1_PT2_T3_T4_T5_iT6_T7_T8_T9_T10_T11_
                                        ; -- End function
	.section	.AMDGPU.csdata,"",@progbits
; Kernel info:
; codeLenInByte = 9736
; NumSgprs: 69
; NumVgprs: 90
; ScratchSize: 480
; MemoryBound: 0
; FloatMode: 240
; IeeeMode: 1
; LDSByteSize: 32768 bytes/workgroup (compile time only)
; SGPRBlocks: 8
; VGPRBlocks: 11
; NumSGPRsForWavesPerEU: 69
; NumVGPRsForWavesPerEU: 90
; Occupancy: 8
; WaveLimiterHint : 1
; COMPUTE_PGM_RSRC2:SCRATCH_EN: 1
; COMPUTE_PGM_RSRC2:USER_SGPR: 15
; COMPUTE_PGM_RSRC2:TRAP_HANDLER: 0
; COMPUTE_PGM_RSRC2:TGID_X_EN: 1
; COMPUTE_PGM_RSRC2:TGID_Y_EN: 0
; COMPUTE_PGM_RSRC2:TGID_Z_EN: 0
; COMPUTE_PGM_RSRC2:TIDIG_COMP_CNT: 0
	.section	.text._ZN2ck16tensor_operation6device12_GLOBAL__N_137kernel_grouped_conv_fwd_dl_multiple_dINS_32GridwiseGemmDlMultipleD_km_kn_mnILi256EaiNS_5TupleIJaEEEaNS0_12element_wise11PassThroughES8_NS7_7AddReluELNS_25InMemoryDataOperationEnumE0ENS_16TensorDescriptorINS5_IJNS_5EmbedINS5_IJiiiEEESD_Lb0EEENS_11PassThroughIiEENS_3PadIiiiLb0EEESG_SG_NSC_INS5_IJiiEEESJ_Lb0EEESG_NS_23Merge_v2_magic_divisionISJ_EESM_NS_8RightPadIiiLb0EEESO_NS_7UnMergeISJ_Lb0EEESG_EEENS5_IJNS_8SequenceIJLi0EEEENSS_IJLi1EEEENSS_IJLi2EEEENSS_IJLi3EEEENSS_IJLi4EEEENSS_IJLi5EEEENSS_IJLi6EEEENSS_IJLi7ELi9EEEENSS_IJLi8ELi10EEEENSS_IJLi11EEEENSS_IJLi12EEEENSS_IJLi14EEEENSS_IJLi13EEEEEEENS5_IJNSS_IJLi1ELi2ELi3EEEESX_SY_SZ_NSS_IJLi7EEEENSS_IJLi8ELi9EEEENSS_IJLi10EEEES12_S13_S15_S14_NSS_IJLi15ELi16EEEENSS_IJLi17EEEEEEENSS_IJLi15ELi17ELi16EEEElEENSB_INS5_IJSQ_SO_SO_SQ_SG_EEENS5_IJST_SU_SV_SX_SW_EEENS5_IJNSS_IJLi1ELi2EEEESW_SX_NSS_IJLi5ELi6EEEES18_EEENSS_IJLi5ELi7ELi6EEEElEENSB_INS5_IJSK_SO_SO_EEENS5_IJST_SU_SV_EEENS5_IJS1I_SW_SX_EEENSS_IJLi3ELi4EEEElEELi128ELi128ELi16ELi4ELi4ELi4ELi1ENSS_IJLi8ELi2EEEES1S_NSS_IJLi8ELi1ELi1ELi4EEEENSS_IJLi2ELi1ELi128ELi1EEEENSS_IJLi1ELi2ELi0ELi3EEEES1V_NSS_IJLi4ELi1ELi1ELi4EEEES1V_NSS_IJLi1ELi1ELi1ELi4EEEES1T_S1U_S1V_S1V_S1W_S1V_S1X_NSS_IJLi0ELi1ELi2ELi3ELi4ELi5EEEELi5ELi4EEEaNS5_IJPKaEEEaS8_S8_S9_NSB_INS5_IJSE_SG_SI_SG_SG_SK_SG_SM_SM_SO_SO_SQ_SG_SG_NSP_INS5_IJiNS_17integral_constantIiLi128EEEEEELb0EEENSF_INS23_IiLi4EEEEEEEENS5_IJST_SU_SV_SW_SX_SY_SZ_S10_S11_S12_S13_S14_S15_NSS_IJLi15EEEES1C_NSS_IJLi16EEEEEEENS5_IJS17_SX_SY_SZ_S18_S19_S1A_S12_S13_S15_S14_S1B_S1C_NSS_IJLi18EEEENSS_IJLi19ELi20EEEENSS_IJLi21EEEEEEENSS_IJLi18ELi19ELi20ELi21EEEElEENSB_INS5_IJSQ_SO_SO_SQ_SG_SG_S26_S28_EEENS5_IJST_SU_SV_SX_SW_SY_S18_SZ_EEENS5_IJS1I_SW_SX_S1J_S18_NSS_IJLi8EEEENSS_IJLi9ELi10EEEES12_EEENSS_IJLi8ELi9ELi10ELi11EEEElEENS5_IJNSB_INS5_IJSK_SO_SO_NSP_INS5_IJiNS23_IiLi2EEENS23_IiLi64EEEEEELb0EEES2T_EEENS5_IJST_SU_SV_SW_SX_EEENS5_IJS1I_SW_SX_NSS_IJLi5ELi6ELi7EEEENSS_IJLi8ELi9ELi10EEEEEEENSS_IJLi5ELi6ELi7ELi8ELi9ELi10EEEElEEEEES30_NS_31BlockToCTileMap_M00_N00_M01_N01ILi128ELi128ES1R_Lb0EEENS1_30ComputePtrOffsetOfStridedBatchILi1ELi1ELi1EvEELb0ELb0EEEvPKT0_S38_T1_PT2_T3_T4_T5_iT6_T7_T8_T9_T10_T11_,"axG",@progbits,_ZN2ck16tensor_operation6device12_GLOBAL__N_137kernel_grouped_conv_fwd_dl_multiple_dINS_32GridwiseGemmDlMultipleD_km_kn_mnILi256EaiNS_5TupleIJaEEEaNS0_12element_wise11PassThroughES8_NS7_7AddReluELNS_25InMemoryDataOperationEnumE0ENS_16TensorDescriptorINS5_IJNS_5EmbedINS5_IJiiiEEESD_Lb0EEENS_11PassThroughIiEENS_3PadIiiiLb0EEESG_SG_NSC_INS5_IJiiEEESJ_Lb0EEESG_NS_23Merge_v2_magic_divisionISJ_EESM_NS_8RightPadIiiLb0EEESO_NS_7UnMergeISJ_Lb0EEESG_EEENS5_IJNS_8SequenceIJLi0EEEENSS_IJLi1EEEENSS_IJLi2EEEENSS_IJLi3EEEENSS_IJLi4EEEENSS_IJLi5EEEENSS_IJLi6EEEENSS_IJLi7ELi9EEEENSS_IJLi8ELi10EEEENSS_IJLi11EEEENSS_IJLi12EEEENSS_IJLi14EEEENSS_IJLi13EEEEEEENS5_IJNSS_IJLi1ELi2ELi3EEEESX_SY_SZ_NSS_IJLi7EEEENSS_IJLi8ELi9EEEENSS_IJLi10EEEES12_S13_S15_S14_NSS_IJLi15ELi16EEEENSS_IJLi17EEEEEEENSS_IJLi15ELi17ELi16EEEElEENSB_INS5_IJSQ_SO_SO_SQ_SG_EEENS5_IJST_SU_SV_SX_SW_EEENS5_IJNSS_IJLi1ELi2EEEESW_SX_NSS_IJLi5ELi6EEEES18_EEENSS_IJLi5ELi7ELi6EEEElEENSB_INS5_IJSK_SO_SO_EEENS5_IJST_SU_SV_EEENS5_IJS1I_SW_SX_EEENSS_IJLi3ELi4EEEElEELi128ELi128ELi16ELi4ELi4ELi4ELi1ENSS_IJLi8ELi2EEEES1S_NSS_IJLi8ELi1ELi1ELi4EEEENSS_IJLi2ELi1ELi128ELi1EEEENSS_IJLi1ELi2ELi0ELi3EEEES1V_NSS_IJLi4ELi1ELi1ELi4EEEES1V_NSS_IJLi1ELi1ELi1ELi4EEEES1T_S1U_S1V_S1V_S1W_S1V_S1X_NSS_IJLi0ELi1ELi2ELi3ELi4ELi5EEEELi5ELi4EEEaNS5_IJPKaEEEaS8_S8_S9_NSB_INS5_IJSE_SG_SI_SG_SG_SK_SG_SM_SM_SO_SO_SQ_SG_SG_NSP_INS5_IJiNS_17integral_constantIiLi128EEEEEELb0EEENSF_INS23_IiLi4EEEEEEEENS5_IJST_SU_SV_SW_SX_SY_SZ_S10_S11_S12_S13_S14_S15_NSS_IJLi15EEEES1C_NSS_IJLi16EEEEEEENS5_IJS17_SX_SY_SZ_S18_S19_S1A_S12_S13_S15_S14_S1B_S1C_NSS_IJLi18EEEENSS_IJLi19ELi20EEEENSS_IJLi21EEEEEEENSS_IJLi18ELi19ELi20ELi21EEEElEENSB_INS5_IJSQ_SO_SO_SQ_SG_SG_S26_S28_EEENS5_IJST_SU_SV_SX_SW_SY_S18_SZ_EEENS5_IJS1I_SW_SX_S1J_S18_NSS_IJLi8EEEENSS_IJLi9ELi10EEEES12_EEENSS_IJLi8ELi9ELi10ELi11EEEElEENS5_IJNSB_INS5_IJSK_SO_SO_NSP_INS5_IJiNS23_IiLi2EEENS23_IiLi64EEEEEELb0EEES2T_EEENS5_IJST_SU_SV_SW_SX_EEENS5_IJS1I_SW_SX_NSS_IJLi5ELi6ELi7EEEENSS_IJLi8ELi9ELi10EEEEEEENSS_IJLi5ELi6ELi7ELi8ELi9ELi10EEEElEEEEES30_NS_31BlockToCTileMap_M00_N00_M01_N01ILi128ELi128ES1R_Lb0EEENS1_30ComputePtrOffsetOfStridedBatchILi1ELi1ELi1EvEELb0ELb0EEEvPKT0_S38_T1_PT2_T3_T4_T5_iT6_T7_T8_T9_T10_T11_,comdat
	.globl	_ZN2ck16tensor_operation6device12_GLOBAL__N_137kernel_grouped_conv_fwd_dl_multiple_dINS_32GridwiseGemmDlMultipleD_km_kn_mnILi256EaiNS_5TupleIJaEEEaNS0_12element_wise11PassThroughES8_NS7_7AddReluELNS_25InMemoryDataOperationEnumE0ENS_16TensorDescriptorINS5_IJNS_5EmbedINS5_IJiiiEEESD_Lb0EEENS_11PassThroughIiEENS_3PadIiiiLb0EEESG_SG_NSC_INS5_IJiiEEESJ_Lb0EEESG_NS_23Merge_v2_magic_divisionISJ_EESM_NS_8RightPadIiiLb0EEESO_NS_7UnMergeISJ_Lb0EEESG_EEENS5_IJNS_8SequenceIJLi0EEEENSS_IJLi1EEEENSS_IJLi2EEEENSS_IJLi3EEEENSS_IJLi4EEEENSS_IJLi5EEEENSS_IJLi6EEEENSS_IJLi7ELi9EEEENSS_IJLi8ELi10EEEENSS_IJLi11EEEENSS_IJLi12EEEENSS_IJLi14EEEENSS_IJLi13EEEEEEENS5_IJNSS_IJLi1ELi2ELi3EEEESX_SY_SZ_NSS_IJLi7EEEENSS_IJLi8ELi9EEEENSS_IJLi10EEEES12_S13_S15_S14_NSS_IJLi15ELi16EEEENSS_IJLi17EEEEEEENSS_IJLi15ELi17ELi16EEEElEENSB_INS5_IJSQ_SO_SO_SQ_SG_EEENS5_IJST_SU_SV_SX_SW_EEENS5_IJNSS_IJLi1ELi2EEEESW_SX_NSS_IJLi5ELi6EEEES18_EEENSS_IJLi5ELi7ELi6EEEElEENSB_INS5_IJSK_SO_SO_EEENS5_IJST_SU_SV_EEENS5_IJS1I_SW_SX_EEENSS_IJLi3ELi4EEEElEELi128ELi128ELi16ELi4ELi4ELi4ELi1ENSS_IJLi8ELi2EEEES1S_NSS_IJLi8ELi1ELi1ELi4EEEENSS_IJLi2ELi1ELi128ELi1EEEENSS_IJLi1ELi2ELi0ELi3EEEES1V_NSS_IJLi4ELi1ELi1ELi4EEEES1V_NSS_IJLi1ELi1ELi1ELi4EEEES1T_S1U_S1V_S1V_S1W_S1V_S1X_NSS_IJLi0ELi1ELi2ELi3ELi4ELi5EEEELi5ELi4EEEaNS5_IJPKaEEEaS8_S8_S9_NSB_INS5_IJSE_SG_SI_SG_SG_SK_SG_SM_SM_SO_SO_SQ_SG_SG_NSP_INS5_IJiNS_17integral_constantIiLi128EEEEEELb0EEENSF_INS23_IiLi4EEEEEEEENS5_IJST_SU_SV_SW_SX_SY_SZ_S10_S11_S12_S13_S14_S15_NSS_IJLi15EEEES1C_NSS_IJLi16EEEEEEENS5_IJS17_SX_SY_SZ_S18_S19_S1A_S12_S13_S15_S14_S1B_S1C_NSS_IJLi18EEEENSS_IJLi19ELi20EEEENSS_IJLi21EEEEEEENSS_IJLi18ELi19ELi20ELi21EEEElEENSB_INS5_IJSQ_SO_SO_SQ_SG_SG_S26_S28_EEENS5_IJST_SU_SV_SX_SW_SY_S18_SZ_EEENS5_IJS1I_SW_SX_S1J_S18_NSS_IJLi8EEEENSS_IJLi9ELi10EEEES12_EEENSS_IJLi8ELi9ELi10ELi11EEEElEENS5_IJNSB_INS5_IJSK_SO_SO_NSP_INS5_IJiNS23_IiLi2EEENS23_IiLi64EEEEEELb0EEES2T_EEENS5_IJST_SU_SV_SW_SX_EEENS5_IJS1I_SW_SX_NSS_IJLi5ELi6ELi7EEEENSS_IJLi8ELi9ELi10EEEEEEENSS_IJLi5ELi6ELi7ELi8ELi9ELi10EEEElEEEEES30_NS_31BlockToCTileMap_M00_N00_M01_N01ILi128ELi128ES1R_Lb0EEENS1_30ComputePtrOffsetOfStridedBatchILi1ELi1ELi1EvEELb0ELb0EEEvPKT0_S38_T1_PT2_T3_T4_T5_iT6_T7_T8_T9_T10_T11_ ; -- Begin function _ZN2ck16tensor_operation6device12_GLOBAL__N_137kernel_grouped_conv_fwd_dl_multiple_dINS_32GridwiseGemmDlMultipleD_km_kn_mnILi256EaiNS_5TupleIJaEEEaNS0_12element_wise11PassThroughES8_NS7_7AddReluELNS_25InMemoryDataOperationEnumE0ENS_16TensorDescriptorINS5_IJNS_5EmbedINS5_IJiiiEEESD_Lb0EEENS_11PassThroughIiEENS_3PadIiiiLb0EEESG_SG_NSC_INS5_IJiiEEESJ_Lb0EEESG_NS_23Merge_v2_magic_divisionISJ_EESM_NS_8RightPadIiiLb0EEESO_NS_7UnMergeISJ_Lb0EEESG_EEENS5_IJNS_8SequenceIJLi0EEEENSS_IJLi1EEEENSS_IJLi2EEEENSS_IJLi3EEEENSS_IJLi4EEEENSS_IJLi5EEEENSS_IJLi6EEEENSS_IJLi7ELi9EEEENSS_IJLi8ELi10EEEENSS_IJLi11EEEENSS_IJLi12EEEENSS_IJLi14EEEENSS_IJLi13EEEEEEENS5_IJNSS_IJLi1ELi2ELi3EEEESX_SY_SZ_NSS_IJLi7EEEENSS_IJLi8ELi9EEEENSS_IJLi10EEEES12_S13_S15_S14_NSS_IJLi15ELi16EEEENSS_IJLi17EEEEEEENSS_IJLi15ELi17ELi16EEEElEENSB_INS5_IJSQ_SO_SO_SQ_SG_EEENS5_IJST_SU_SV_SX_SW_EEENS5_IJNSS_IJLi1ELi2EEEESW_SX_NSS_IJLi5ELi6EEEES18_EEENSS_IJLi5ELi7ELi6EEEElEENSB_INS5_IJSK_SO_SO_EEENS5_IJST_SU_SV_EEENS5_IJS1I_SW_SX_EEENSS_IJLi3ELi4EEEElEELi128ELi128ELi16ELi4ELi4ELi4ELi1ENSS_IJLi8ELi2EEEES1S_NSS_IJLi8ELi1ELi1ELi4EEEENSS_IJLi2ELi1ELi128ELi1EEEENSS_IJLi1ELi2ELi0ELi3EEEES1V_NSS_IJLi4ELi1ELi1ELi4EEEES1V_NSS_IJLi1ELi1ELi1ELi4EEEES1T_S1U_S1V_S1V_S1W_S1V_S1X_NSS_IJLi0ELi1ELi2ELi3ELi4ELi5EEEELi5ELi4EEEaNS5_IJPKaEEEaS8_S8_S9_NSB_INS5_IJSE_SG_SI_SG_SG_SK_SG_SM_SM_SO_SO_SQ_SG_SG_NSP_INS5_IJiNS_17integral_constantIiLi128EEEEEELb0EEENSF_INS23_IiLi4EEEEEEEENS5_IJST_SU_SV_SW_SX_SY_SZ_S10_S11_S12_S13_S14_S15_NSS_IJLi15EEEES1C_NSS_IJLi16EEEEEEENS5_IJS17_SX_SY_SZ_S18_S19_S1A_S12_S13_S15_S14_S1B_S1C_NSS_IJLi18EEEENSS_IJLi19ELi20EEEENSS_IJLi21EEEEEEENSS_IJLi18ELi19ELi20ELi21EEEElEENSB_INS5_IJSQ_SO_SO_SQ_SG_SG_S26_S28_EEENS5_IJST_SU_SV_SX_SW_SY_S18_SZ_EEENS5_IJS1I_SW_SX_S1J_S18_NSS_IJLi8EEEENSS_IJLi9ELi10EEEES12_EEENSS_IJLi8ELi9ELi10ELi11EEEElEENS5_IJNSB_INS5_IJSK_SO_SO_NSP_INS5_IJiNS23_IiLi2EEENS23_IiLi64EEEEEELb0EEES2T_EEENS5_IJST_SU_SV_SW_SX_EEENS5_IJS1I_SW_SX_NSS_IJLi5ELi6ELi7EEEENSS_IJLi8ELi9ELi10EEEEEEENSS_IJLi5ELi6ELi7ELi8ELi9ELi10EEEElEEEEES30_NS_31BlockToCTileMap_M00_N00_M01_N01ILi128ELi128ES1R_Lb0EEENS1_30ComputePtrOffsetOfStridedBatchILi1ELi1ELi1EvEELb0ELb0EEEvPKT0_S38_T1_PT2_T3_T4_T5_iT6_T7_T8_T9_T10_T11_
	.p2align	8
	.type	_ZN2ck16tensor_operation6device12_GLOBAL__N_137kernel_grouped_conv_fwd_dl_multiple_dINS_32GridwiseGemmDlMultipleD_km_kn_mnILi256EaiNS_5TupleIJaEEEaNS0_12element_wise11PassThroughES8_NS7_7AddReluELNS_25InMemoryDataOperationEnumE0ENS_16TensorDescriptorINS5_IJNS_5EmbedINS5_IJiiiEEESD_Lb0EEENS_11PassThroughIiEENS_3PadIiiiLb0EEESG_SG_NSC_INS5_IJiiEEESJ_Lb0EEESG_NS_23Merge_v2_magic_divisionISJ_EESM_NS_8RightPadIiiLb0EEESO_NS_7UnMergeISJ_Lb0EEESG_EEENS5_IJNS_8SequenceIJLi0EEEENSS_IJLi1EEEENSS_IJLi2EEEENSS_IJLi3EEEENSS_IJLi4EEEENSS_IJLi5EEEENSS_IJLi6EEEENSS_IJLi7ELi9EEEENSS_IJLi8ELi10EEEENSS_IJLi11EEEENSS_IJLi12EEEENSS_IJLi14EEEENSS_IJLi13EEEEEEENS5_IJNSS_IJLi1ELi2ELi3EEEESX_SY_SZ_NSS_IJLi7EEEENSS_IJLi8ELi9EEEENSS_IJLi10EEEES12_S13_S15_S14_NSS_IJLi15ELi16EEEENSS_IJLi17EEEEEEENSS_IJLi15ELi17ELi16EEEElEENSB_INS5_IJSQ_SO_SO_SQ_SG_EEENS5_IJST_SU_SV_SX_SW_EEENS5_IJNSS_IJLi1ELi2EEEESW_SX_NSS_IJLi5ELi6EEEES18_EEENSS_IJLi5ELi7ELi6EEEElEENSB_INS5_IJSK_SO_SO_EEENS5_IJST_SU_SV_EEENS5_IJS1I_SW_SX_EEENSS_IJLi3ELi4EEEElEELi128ELi128ELi16ELi4ELi4ELi4ELi1ENSS_IJLi8ELi2EEEES1S_NSS_IJLi8ELi1ELi1ELi4EEEENSS_IJLi2ELi1ELi128ELi1EEEENSS_IJLi1ELi2ELi0ELi3EEEES1V_NSS_IJLi4ELi1ELi1ELi4EEEES1V_NSS_IJLi1ELi1ELi1ELi4EEEES1T_S1U_S1V_S1V_S1W_S1V_S1X_NSS_IJLi0ELi1ELi2ELi3ELi4ELi5EEEELi5ELi4EEEaNS5_IJPKaEEEaS8_S8_S9_NSB_INS5_IJSE_SG_SI_SG_SG_SK_SG_SM_SM_SO_SO_SQ_SG_SG_NSP_INS5_IJiNS_17integral_constantIiLi128EEEEEELb0EEENSF_INS23_IiLi4EEEEEEEENS5_IJST_SU_SV_SW_SX_SY_SZ_S10_S11_S12_S13_S14_S15_NSS_IJLi15EEEES1C_NSS_IJLi16EEEEEEENS5_IJS17_SX_SY_SZ_S18_S19_S1A_S12_S13_S15_S14_S1B_S1C_NSS_IJLi18EEEENSS_IJLi19ELi20EEEENSS_IJLi21EEEEEEENSS_IJLi18ELi19ELi20ELi21EEEElEENSB_INS5_IJSQ_SO_SO_SQ_SG_SG_S26_S28_EEENS5_IJST_SU_SV_SX_SW_SY_S18_SZ_EEENS5_IJS1I_SW_SX_S1J_S18_NSS_IJLi8EEEENSS_IJLi9ELi10EEEES12_EEENSS_IJLi8ELi9ELi10ELi11EEEElEENS5_IJNSB_INS5_IJSK_SO_SO_NSP_INS5_IJiNS23_IiLi2EEENS23_IiLi64EEEEEELb0EEES2T_EEENS5_IJST_SU_SV_SW_SX_EEENS5_IJS1I_SW_SX_NSS_IJLi5ELi6ELi7EEEENSS_IJLi8ELi9ELi10EEEEEEENSS_IJLi5ELi6ELi7ELi8ELi9ELi10EEEElEEEEES30_NS_31BlockToCTileMap_M00_N00_M01_N01ILi128ELi128ES1R_Lb0EEENS1_30ComputePtrOffsetOfStridedBatchILi1ELi1ELi1EvEELb0ELb0EEEvPKT0_S38_T1_PT2_T3_T4_T5_iT6_T7_T8_T9_T10_T11_,@function
_ZN2ck16tensor_operation6device12_GLOBAL__N_137kernel_grouped_conv_fwd_dl_multiple_dINS_32GridwiseGemmDlMultipleD_km_kn_mnILi256EaiNS_5TupleIJaEEEaNS0_12element_wise11PassThroughES8_NS7_7AddReluELNS_25InMemoryDataOperationEnumE0ENS_16TensorDescriptorINS5_IJNS_5EmbedINS5_IJiiiEEESD_Lb0EEENS_11PassThroughIiEENS_3PadIiiiLb0EEESG_SG_NSC_INS5_IJiiEEESJ_Lb0EEESG_NS_23Merge_v2_magic_divisionISJ_EESM_NS_8RightPadIiiLb0EEESO_NS_7UnMergeISJ_Lb0EEESG_EEENS5_IJNS_8SequenceIJLi0EEEENSS_IJLi1EEEENSS_IJLi2EEEENSS_IJLi3EEEENSS_IJLi4EEEENSS_IJLi5EEEENSS_IJLi6EEEENSS_IJLi7ELi9EEEENSS_IJLi8ELi10EEEENSS_IJLi11EEEENSS_IJLi12EEEENSS_IJLi14EEEENSS_IJLi13EEEEEEENS5_IJNSS_IJLi1ELi2ELi3EEEESX_SY_SZ_NSS_IJLi7EEEENSS_IJLi8ELi9EEEENSS_IJLi10EEEES12_S13_S15_S14_NSS_IJLi15ELi16EEEENSS_IJLi17EEEEEEENSS_IJLi15ELi17ELi16EEEElEENSB_INS5_IJSQ_SO_SO_SQ_SG_EEENS5_IJST_SU_SV_SX_SW_EEENS5_IJNSS_IJLi1ELi2EEEESW_SX_NSS_IJLi5ELi6EEEES18_EEENSS_IJLi5ELi7ELi6EEEElEENSB_INS5_IJSK_SO_SO_EEENS5_IJST_SU_SV_EEENS5_IJS1I_SW_SX_EEENSS_IJLi3ELi4EEEElEELi128ELi128ELi16ELi4ELi4ELi4ELi1ENSS_IJLi8ELi2EEEES1S_NSS_IJLi8ELi1ELi1ELi4EEEENSS_IJLi2ELi1ELi128ELi1EEEENSS_IJLi1ELi2ELi0ELi3EEEES1V_NSS_IJLi4ELi1ELi1ELi4EEEES1V_NSS_IJLi1ELi1ELi1ELi4EEEES1T_S1U_S1V_S1V_S1W_S1V_S1X_NSS_IJLi0ELi1ELi2ELi3ELi4ELi5EEEELi5ELi4EEEaNS5_IJPKaEEEaS8_S8_S9_NSB_INS5_IJSE_SG_SI_SG_SG_SK_SG_SM_SM_SO_SO_SQ_SG_SG_NSP_INS5_IJiNS_17integral_constantIiLi128EEEEEELb0EEENSF_INS23_IiLi4EEEEEEEENS5_IJST_SU_SV_SW_SX_SY_SZ_S10_S11_S12_S13_S14_S15_NSS_IJLi15EEEES1C_NSS_IJLi16EEEEEEENS5_IJS17_SX_SY_SZ_S18_S19_S1A_S12_S13_S15_S14_S1B_S1C_NSS_IJLi18EEEENSS_IJLi19ELi20EEEENSS_IJLi21EEEEEEENSS_IJLi18ELi19ELi20ELi21EEEElEENSB_INS5_IJSQ_SO_SO_SQ_SG_SG_S26_S28_EEENS5_IJST_SU_SV_SX_SW_SY_S18_SZ_EEENS5_IJS1I_SW_SX_S1J_S18_NSS_IJLi8EEEENSS_IJLi9ELi10EEEES12_EEENSS_IJLi8ELi9ELi10ELi11EEEElEENS5_IJNSB_INS5_IJSK_SO_SO_NSP_INS5_IJiNS23_IiLi2EEENS23_IiLi64EEEEEELb0EEES2T_EEENS5_IJST_SU_SV_SW_SX_EEENS5_IJS1I_SW_SX_NSS_IJLi5ELi6ELi7EEEENSS_IJLi8ELi9ELi10EEEEEEENSS_IJLi5ELi6ELi7ELi8ELi9ELi10EEEElEEEEES30_NS_31BlockToCTileMap_M00_N00_M01_N01ILi128ELi128ES1R_Lb0EEENS1_30ComputePtrOffsetOfStridedBatchILi1ELi1ELi1EvEELb0ELb0EEEvPKT0_S38_T1_PT2_T3_T4_T5_iT6_T7_T8_T9_T10_T11_: ; @_ZN2ck16tensor_operation6device12_GLOBAL__N_137kernel_grouped_conv_fwd_dl_multiple_dINS_32GridwiseGemmDlMultipleD_km_kn_mnILi256EaiNS_5TupleIJaEEEaNS0_12element_wise11PassThroughES8_NS7_7AddReluELNS_25InMemoryDataOperationEnumE0ENS_16TensorDescriptorINS5_IJNS_5EmbedINS5_IJiiiEEESD_Lb0EEENS_11PassThroughIiEENS_3PadIiiiLb0EEESG_SG_NSC_INS5_IJiiEEESJ_Lb0EEESG_NS_23Merge_v2_magic_divisionISJ_EESM_NS_8RightPadIiiLb0EEESO_NS_7UnMergeISJ_Lb0EEESG_EEENS5_IJNS_8SequenceIJLi0EEEENSS_IJLi1EEEENSS_IJLi2EEEENSS_IJLi3EEEENSS_IJLi4EEEENSS_IJLi5EEEENSS_IJLi6EEEENSS_IJLi7ELi9EEEENSS_IJLi8ELi10EEEENSS_IJLi11EEEENSS_IJLi12EEEENSS_IJLi14EEEENSS_IJLi13EEEEEEENS5_IJNSS_IJLi1ELi2ELi3EEEESX_SY_SZ_NSS_IJLi7EEEENSS_IJLi8ELi9EEEENSS_IJLi10EEEES12_S13_S15_S14_NSS_IJLi15ELi16EEEENSS_IJLi17EEEEEEENSS_IJLi15ELi17ELi16EEEElEENSB_INS5_IJSQ_SO_SO_SQ_SG_EEENS5_IJST_SU_SV_SX_SW_EEENS5_IJNSS_IJLi1ELi2EEEESW_SX_NSS_IJLi5ELi6EEEES18_EEENSS_IJLi5ELi7ELi6EEEElEENSB_INS5_IJSK_SO_SO_EEENS5_IJST_SU_SV_EEENS5_IJS1I_SW_SX_EEENSS_IJLi3ELi4EEEElEELi128ELi128ELi16ELi4ELi4ELi4ELi1ENSS_IJLi8ELi2EEEES1S_NSS_IJLi8ELi1ELi1ELi4EEEENSS_IJLi2ELi1ELi128ELi1EEEENSS_IJLi1ELi2ELi0ELi3EEEES1V_NSS_IJLi4ELi1ELi1ELi4EEEES1V_NSS_IJLi1ELi1ELi1ELi4EEEES1T_S1U_S1V_S1V_S1W_S1V_S1X_NSS_IJLi0ELi1ELi2ELi3ELi4ELi5EEEELi5ELi4EEEaNS5_IJPKaEEEaS8_S8_S9_NSB_INS5_IJSE_SG_SI_SG_SG_SK_SG_SM_SM_SO_SO_SQ_SG_SG_NSP_INS5_IJiNS_17integral_constantIiLi128EEEEEELb0EEENSF_INS23_IiLi4EEEEEEEENS5_IJST_SU_SV_SW_SX_SY_SZ_S10_S11_S12_S13_S14_S15_NSS_IJLi15EEEES1C_NSS_IJLi16EEEEEEENS5_IJS17_SX_SY_SZ_S18_S19_S1A_S12_S13_S15_S14_S1B_S1C_NSS_IJLi18EEEENSS_IJLi19ELi20EEEENSS_IJLi21EEEEEEENSS_IJLi18ELi19ELi20ELi21EEEElEENSB_INS5_IJSQ_SO_SO_SQ_SG_SG_S26_S28_EEENS5_IJST_SU_SV_SX_SW_SY_S18_SZ_EEENS5_IJS1I_SW_SX_S1J_S18_NSS_IJLi8EEEENSS_IJLi9ELi10EEEES12_EEENSS_IJLi8ELi9ELi10ELi11EEEElEENS5_IJNSB_INS5_IJSK_SO_SO_NSP_INS5_IJiNS23_IiLi2EEENS23_IiLi64EEEEEELb0EEES2T_EEENS5_IJST_SU_SV_SW_SX_EEENS5_IJS1I_SW_SX_NSS_IJLi5ELi6ELi7EEEENSS_IJLi8ELi9ELi10EEEEEEENSS_IJLi5ELi6ELi7ELi8ELi9ELi10EEEElEEEEES30_NS_31BlockToCTileMap_M00_N00_M01_N01ILi128ELi128ES1R_Lb0EEENS1_30ComputePtrOffsetOfStridedBatchILi1ELi1ELi1EvEELb0ELb0EEEvPKT0_S38_T1_PT2_T3_T4_T5_iT6_T7_T8_T9_T10_T11_
; %bb.0:
	s_clause 0x1
	s_load_b32 s2, s[0:1], 0x24
	s_load_b32 s4, s[0:1], 0x288
	s_mov_b64 s[12:13], src_shared_base
	s_mov_b32 s44, 0
	v_lshrrev_b32_e32 v25, 1, v0
	s_mov_b32 s47, s44
	s_mov_b32 s45, s44
	;; [unrolled: 1-line block ×3, first 2 shown]
	v_mov_b32_e32 v22, s13
	v_lshrrev_b32_e32 v11, 5, v0
	s_load_b256 s[16:23], s[0:1], 0x0
	s_movk_i32 s32, 0x1c0
	v_dual_mov_b32 v34, 0 :: v_dual_lshlrev_b32 v13, 1, v0
	v_lshlrev_b32_e32 v7, 3, v0
	v_lshlrev_b32_e32 v0, 2, v0
	s_delay_alu instid0(VALU_DEP_3) | instskip(SKIP_1) | instid1(VALU_DEP_4)
	v_mov_b32_e32 v36, v34
	v_mov_b32_e32 v8, v34
	v_dual_mov_b32 v9, v34 :: v_dual_and_b32 v26, 8, v7
	s_waitcnt lgkmcnt(0)
	s_abs_i32 s3, s2
	s_abs_i32 s7, s4
	v_cvt_f32_u32_e32 v1, s3
	s_sub_i32 s6, 0, s3
	s_xor_b32 s2, s4, s2
	v_mov_b32_e32 v10, v34
	s_ashr_i32 s2, s2, 31
	v_rcp_iflag_f32_e32 v1, v1
	v_and_b32_e32 v7, 0x1f8, v13
	v_dual_mov_b32 v6, v34 :: v_dual_and_b32 v13, 0x1fc, v13
	v_mov_b32_e32 v12, v34
	v_or_b32_e32 v15, 4, v26
	s_delay_alu instid0(VALU_DEP_3)
	v_sub_nc_u32_e32 v13, v13, v7
	s_waitcnt_depctr 0xfff
	v_mul_f32_e32 v1, 0x4f7ffffe, v1
	v_lshl_add_u32 v35, v11, 3, v13
	v_mov_b32_e32 v14, v34
	v_mov_b32_e32 v16, v34
	s_delay_alu instid0(VALU_DEP_4) | instskip(SKIP_1) | instid1(VALU_DEP_2)
	v_cvt_u32_f32_e32 v1, v1
	v_mov_b32_e32 v18, v34
	v_readfirstlane_b32 s5, v1
	s_delay_alu instid0(VALU_DEP_1) | instskip(NEXT) | instid1(SALU_CYCLE_1)
	s_mul_i32 s6, s6, s5
	s_mul_hi_u32 s6, s5, s6
	s_delay_alu instid0(SALU_CYCLE_1) | instskip(NEXT) | instid1(SALU_CYCLE_1)
	s_add_i32 s5, s5, s6
	s_mul_hi_u32 s5, s7, s5
	s_delay_alu instid0(SALU_CYCLE_1) | instskip(SKIP_2) | instid1(SALU_CYCLE_1)
	s_mul_i32 s4, s5, s3
	s_add_i32 s6, s5, 1
	s_sub_i32 s4, s7, s4
	s_sub_i32 s7, s4, s3
	s_cmp_ge_u32 s4, s3
	s_cselect_b32 s5, s6, s5
	s_cselect_b32 s4, s7, s4
	s_add_i32 s6, s5, 1
	s_cmp_ge_u32 s4, s3
	s_cselect_b32 s3, s6, s5
	s_abs_i32 s40, s15
	s_xor_b32 s3, s3, s2
	s_load_b256 s[4:11], s[0:1], 0x34
	s_sub_i32 s12, s3, s2
	s_clause 0x6
	s_load_b64 s[2:3], s[0:1], 0x60
	s_load_b32 s35, s[0:1], 0x70
	s_load_b32 s39, s[0:1], 0x78
	;; [unrolled: 1-line block ×6, first 2 shown]
	s_waitcnt lgkmcnt(0)
	s_load_b32 s11, s[0:1], 0xa8
	s_abs_i32 s36, s12
	s_clause 0x6
	s_load_b32 s62, s[0:1], 0xc4
	s_load_b32 s38, s[0:1], 0xe8
	;; [unrolled: 1-line block ×7, first 2 shown]
	v_cvt_f32_u32_e32 v1, s36
	s_sub_i32 s37, 0, s36
	s_clause 0x5
	s_load_b32 s64, s[0:1], 0x204
	s_load_b32 s65, s[0:1], 0x214
	s_load_b128 s[48:51], s[0:1], 0x220
	s_load_b128 s[56:59], s[0:1], 0x234
	;; [unrolled: 1-line block ×3, first 2 shown]
	s_load_b256 s[24:31], s[0:1], 0x260
	s_xor_b32 s12, s15, s12
	v_rcp_iflag_f32_e32 v5, v1
	v_dual_mov_b32 v1, s44 :: v_dual_mov_b32 v4, s47
	s_ashr_i32 s12, s12, 31
	v_dual_mov_b32 v2, s45 :: v_dual_mov_b32 v3, s46
	s_clause 0x1
	scratch_store_b128 off, v[1:4], off offset:144
	scratch_store_b128 off, v[1:4], off offset:160
	v_mul_f32_e32 v5, 0x4f7ffffe, v5
	s_waitcnt lgkmcnt(0)
	v_mul_lo_u32 v27, s62, v26
	v_mul_lo_u32 v29, s62, v15
	s_clause 0x3
	scratch_store_b128 off, v[1:4], off offset:176
	scratch_store_b128 off, v[1:4], off offset:192
	;; [unrolled: 1-line block ×4, first 2 shown]
	v_cvt_u32_f32_e32 v5, v5
	s_mul_hi_u32 s44, s59, s15
	s_clause 0x3
	scratch_store_b128 off, v[1:4], off offset:240
	scratch_store_b128 off, v[1:4], off offset:256
	;; [unrolled: 1-line block ×4, first 2 shown]
	v_mul_hi_u32 v15, v27, s60
	v_readfirstlane_b32 s13, v5
	v_lshlrev_b32_e32 v5, 6, v11
	v_mov_b32_e32 v21, v34
	v_mul_hi_u32 v23, v29, s60
	s_clause 0x1
	scratch_store_b128 off, v[1:4], off offset:304
	scratch_store_b128 off, v[1:4], off offset:320
	s_mul_i32 s37, s37, s13
	v_sub_nc_u32_e32 v5, v7, v5
	v_add_nc_u32_e32 v30, v27, v15
	s_mul_hi_u32 s37, s13, s37
	v_mov_b32_e32 v7, v35
	s_add_i32 s13, s13, s37
	v_and_or_b32 v37, v0, 4, v5
	s_mul_hi_u32 s13, s40, s13
	v_lshlrev_b32_e32 v5, 2, v35
	s_mul_i32 s37, s13, s36
	s_clause 0x1
	scratch_store_b128 off, v[1:4], off offset:336
	scratch_store_b128 off, v[1:4], off offset:352
	s_sub_i32 s37, s40, s37
	s_add_i32 s40, s13, 1
	s_sub_i32 s41, s37, s36
	s_cmp_ge_u32 s37, s36
	s_clause 0x1
	scratch_store_b128 off, v[1:4], off offset:368
	scratch_store_b128 off, v[1:4], off offset:384
	s_cselect_b32 s13, s40, s13
	s_cselect_b32 s37, s41, s37
	s_add_i32 s40, s13, 1
	s_cmp_ge_u32 s37, s36
	s_clause 0x1
	scratch_store_b64 off, v[21:22], off offset:400
	scratch_store_b8 off, v34, off offset:409
	s_cselect_b32 s13, s40, s13
	v_lshrrev_b32_e32 v30, s61, v30
	s_xor_b32 s13, s13, s12
	s_clause 0x1
	scratch_store_b128 off, v[34:37], off offset:64
	scratch_store_b128 off, v[5:8], off offset:80
	s_sub_i32 s12, s13, s12
	v_add_nc_u32_e32 v23, v29, v23
	s_ashr_i32 s13, s12, 31
	s_mul_hi_u32 s36, s24, s12
	s_mul_i32 s37, s24, s12
	s_mul_hi_u32 s40, s26, s12
	s_mul_i32 s41, s26, s12
	;; [unrolled: 2-line block ×4, first 2 shown]
	s_mul_i32 s26, s26, s13
	s_mul_i32 s30, s30, s13
	;; [unrolled: 1-line block ×8, first 2 shown]
	s_add_i32 s24, s36, s24
	s_add_i32 s26, s40, s26
	s_add_i32 s28, s45, s30
	s_add_i32 s13, s47, s13
	s_add_i32 s24, s24, s25
	s_add_i32 s26, s26, s27
	s_add_i32 s28, s28, s31
	s_add_i32 s13, s13, s29
	s_add_u32 s20, s20, s12
	s_addc_u32 s21, s21, s13
	s_add_u32 s36, s16, s37
	s_addc_u32 s37, s17, s24
	s_add_u32 s40, s18, s41
	s_addc_u32 s41, s19, s26
	s_add_u32 s12, s22, s46
	s_addc_u32 s13, s23, s28
	s_add_i32 s16, s15, s44
	v_mul_lo_u32 v5, v30, s2
	s_lshr_b32 s16, s16, s55
	v_mov_b32_e32 v11, v35
	s_mul_hi_u32 s17, s16, s58
	v_lshrrev_b32_e32 v7, s61, v23
	s_add_i32 s17, s16, s17
	v_mov_b32_e32 v20, v34
	s_lshr_b32 s17, s17, s54
	v_mov_b32_e32 v15, v37
	s_mul_hi_u32 s18, s17, s57
	s_mul_i32 s22, s17, s50
	s_add_i32 s18, s17, s18
	s_sub_i32 s22, s16, s22
	s_lshr_b32 s19, s18, s53
	s_mul_i32 s16, s16, s51
	s_mul_hi_u32 s18, s19, s56
	s_sub_i32 s15, s15, s16
	s_add_i32 s18, s19, s18
	v_mul_lo_u32 v0, s33, v26
	s_lshr_b32 s18, s18, s52
	v_mul_lo_u32 v8, v30, s34
	s_mul_i32 s18, s18, s48
	v_mov_b32_e32 v21, 0x4000
	s_sub_i32 s18, s19, s18
	s_mul_i32 s19, s19, s49
	s_mul_i32 s18, s18, s64
	s_sub_i32 s17, s17, s19
	s_add_i32 s22, s22, s18
	s_mul_i32 s17, s17, s65
	s_lshl_b32 s18, s22, 7
	s_add_i32 s15, s15, s17
	v_or_b32_e32 v28, s18, v25
	s_lshl_b32 s15, s15, 7
	s_lshl_b32 s16, s33, 2
	v_mov_b32_e32 v19, v37
	s_sub_i32 s8, s8, s10
	v_mul_hi_u32 v13, v28, s39
	v_mov_b32_e32 v17, v34
	s_mov_b32 s39, 0x31004000
	s_delay_alu instid0(VALU_DEP_2)
	v_add_nc_u32_e32 v24, v28, v13
	v_lshlrev_b32_e32 v13, 2, v37
	s_clause 0x1
	scratch_store_b128 off, v[9:12], off offset:96
	scratch_store_b128 off, v[13:16], off offset:112
	v_lshrrev_b32_e32 v31, s43, v24
	v_sub_nc_u32_e32 v12, v7, v30
	v_sub_nc_u32_e32 v9, v27, v8
	s_mov_b32 s43, s39
	s_delay_alu instid0(VALU_DEP_3) | instskip(SKIP_1) | instid1(VALU_DEP_3)
	v_mul_lo_u32 v6, v31, s35
	v_mul_lo_u32 v14, v31, s4
	v_mad_u64_u32 v[10:11], null, v7, s34, v[9:10]
	v_mul_lo_u32 v15, v9, s6
	s_delay_alu instid0(VALU_DEP_4) | instskip(NEXT) | instid1(VALU_DEP_3)
	v_sub_nc_u32_e32 v6, v28, v6
	v_sub_nc_u32_e32 v16, v29, v10
	s_delay_alu instid0(VALU_DEP_2) | instskip(SKIP_2) | instid1(VALU_DEP_4)
	v_mad_u64_u32 v[23:24], null, v6, s3, v[5:6]
	v_or_b32_e32 v24, s15, v25
	v_cmp_gt_i32_e64 s3, s7, v0
	v_mul_lo_u32 v16, v16, s6
	s_delay_alu instid0(VALU_DEP_3)
	v_mad_u64_u32 v[5:6], null, v24, s63, v[0:1]
	v_add_nc_u32_e32 v0, s16, v0
	s_clause 0x2
	scratch_store_b128 off, v[17:20], off offset:128
	scratch_store_b64 off, v[21:22], off offset:416
	scratch_store_b8 off, v34, off offset:425
	v_mul_lo_u32 v21, v12, s2
	s_load_b32 s2, s[0:1], 0xb4
	v_subrev_nc_u32_e32 v13, s9, v23
	v_cmp_le_i32_e64 s4, s9, v23
	v_cmp_gt_i32_e64 s6, s7, v0
	v_lshlrev_b32_e32 v22, 2, v25
	s_delay_alu instid0(VALU_DEP_4) | instskip(SKIP_4) | instid1(VALU_DEP_3)
	v_mul_lo_u32 v13, v13, s5
	v_mul_lo_u32 v17, v21, s5
	v_add_nc_u32_e32 v21, v23, v21
	v_cmp_gt_i32_e64 s5, s8, v23
	v_lshl_or_b32 v22, v26, 9, v22
	v_cmp_le_i32_e64 s7, s9, v21
	v_cmp_gt_i32_e64 s9, s14, v24
	s_delay_alu instid0(VALU_DEP_4) | instskip(SKIP_4) | instid1(VALU_DEP_3)
	s_and_b32 s5, s4, s5
	v_add3_u32 v13, v14, v15, v13
	v_cmp_gt_i32_e64 s4, s11, v28
	s_waitcnt lgkmcnt(0)
	v_cmp_gt_i32_e32 vcc_lo, s2, v27
	v_add3_u32 v17, v16, v17, v13
	v_cmp_gt_i32_e64 s2, s2, v29
	s_and_b32 s5, vcc_lo, s5
	s_and_b32 vcc_lo, s3, s9
	v_add_nc_u32_e32 v11, s16, v5
	s_clause 0x1
	buffer_load_b128 v[5:8], v5, s[40:43], 0 offen
	buffer_load_b128 v[9:12], v11, s[40:43], 0 offen
	s_clause 0x1
	buffer_load_b128 v[13:16], v13, s[36:39], 0 offen
	buffer_load_b128 v[17:20], v17, s[36:39], 0 offen
	s_waitcnt vmcnt(3)
	v_dual_cndmask_b32 v0, 0, v8 :: v_dual_cndmask_b32 v7, 0, v7
	v_dual_cndmask_b32 v6, 0, v6 :: v_dual_cndmask_b32 v5, 0, v5
	s_and_b32 vcc_lo, s6, s9
	s_waitcnt vmcnt(2)
	v_dual_cndmask_b32 v9, 0, v9 :: v_dual_cndmask_b32 v8, 0, v12
	v_cmp_gt_i32_e64 s8, s8, v21
	v_perm_b32 v5, v5, v5, 0x3020104
	v_cndmask_b32_e32 v10, 0, v10, vcc_lo
	s_delay_alu instid0(VALU_DEP_4)
	v_perm_b32 v9, v9, v9, 0x3020104
	v_perm_b32 v7, v7, v7, 0x3020104
	s_and_b32 s7, s7, s8
	v_cndmask_b32_e32 v11, 0, v11, vcc_lo
	s_and_b32 s2, s2, s7
	s_and_b32 vcc_lo, s4, s5
	ds_store_2addr_stride64_b32 v22, v5, v6 offset0:64 offset1:66
	ds_store_2addr_stride64_b32 v22, v7, v0 offset0:68 offset1:70
	;; [unrolled: 1-line block ×3, first 2 shown]
	s_waitcnt vmcnt(1)
	v_dual_cndmask_b32 v5, 0, v16 :: v_dual_cndmask_b32 v6, 0, v15
	v_cndmask_b32_e32 v7, 0, v14, vcc_lo
	v_cndmask_b32_e32 v9, 0, v13, vcc_lo
	s_and_b32 vcc_lo, s4, s2
	v_perm_b32 v0, v11, v11, 0x3020104
	s_waitcnt vmcnt(0)
	v_dual_cndmask_b32 v11, 0, v17 :: v_dual_cndmask_b32 v12, 0, v19
	v_perm_b32 v9, v9, v9, 0x3020104
	v_perm_b32 v6, v6, v6, 0x3020104
	v_cndmask_b32_e32 v13, 0, v18, vcc_lo
	s_delay_alu instid0(VALU_DEP_4)
	v_perm_b32 v11, v11, v11, 0x3020104
	v_cndmask_b32_e32 v10, 0, v20, vcc_lo
	v_perm_b32 v12, v12, v12, 0x3020104
	ds_store_2addr_stride64_b32 v22, v0, v8 offset0:76 offset1:78
	ds_store_2addr_stride64_b32 v22, v9, v7 offset1:2
	ds_store_2addr_stride64_b32 v22, v6, v5 offset0:4 offset1:6
	ds_store_2addr_stride64_b32 v22, v11, v13 offset0:8 offset1:10
	;; [unrolled: 1-line block ×3, first 2 shown]
	s_waitcnt lgkmcnt(0)
	s_waitcnt_vscnt null, 0x0
	s_barrier
	buffer_gl0_inv
	s_clause 0x3
	scratch_load_b32 v0, off, off offset:80
	scratch_load_b64 v[5:6], off, off offset:400
	scratch_load_b32 v9, off, off offset:112
	scratch_load_b64 v[7:8], off, off offset:416
	s_clause 0x3
	scratch_store_b128 off, v[1:4], off
	scratch_store_b128 off, v[1:4], off offset:16
	scratch_store_b128 off, v[1:4], off offset:32
	scratch_store_b128 off, v[1:4], off offset:48
	s_mov_b64 s[6:7], src_private_base
	s_waitcnt vmcnt(3)
	v_ashrrev_i32_e32 v10, 31, v0
	s_waitcnt vmcnt(2)
	v_add_co_u32 v32, vcc_lo, v5, v0
	s_waitcnt vmcnt(1)
	v_ashrrev_i32_e32 v4, 31, v9
	v_add_co_ci_u32_e32 v33, vcc_lo, v6, v10, vcc_lo
	s_waitcnt vmcnt(0)
	v_add_co_u32 v9, vcc_lo, v7, v9
	s_delay_alu instid0(VALU_DEP_3)
	v_add_co_ci_u32_e32 v10, vcc_lo, v8, v4, vcc_lo
	flat_load_b128 v[0:3], v[32:33]
	s_waitcnt vmcnt(0) lgkmcnt(0)
	scratch_store_b128 off, v[0:3], off
	flat_load_b128 v[4:7], v[9:10]
	s_waitcnt vmcnt(0) lgkmcnt(0)
	scratch_store_b128 off, v[4:7], off offset:32
	flat_load_b128 v[8:11], v[9:10] offset:256
	s_clause 0x7
	scratch_load_b128 v[12:15], off, off offset:144
	scratch_load_b128 v[16:19], off, off offset:176
	;; [unrolled: 1-line block ×8, first 2 shown]
	s_waitcnt vmcnt(8) lgkmcnt(0)
	scratch_store_b128 off, v[8:11], off offset:48
	flat_load_b128 v[50:53], v[32:33] offset:256
	s_clause 0x7
	s_load_b64 s[16:17], s[0:1], 0x1a8
	s_load_b32 s11, s[0:1], 0x1b4
	s_load_b32 s3, s[0:1], 0x1c0
	;; [unrolled: 1-line block ×3, first 2 shown]
	s_load_b64 s[4:5], s[0:1], 0x158
	s_load_b32 s6, s[0:1], 0x164
	s_load_b32 s2, s[0:1], 0x170
	;; [unrolled: 1-line block ×3, first 2 shown]
	s_waitcnt vmcnt(8)
	v_dot4_i32_iu8 v12, v0, v4, v12 neg_lo:[1,1,0]
	v_dot4_i32_iu8 v13, v0, v5, v13 neg_lo:[1,1,0]
	v_dot4_i32_iu8 v14, v0, v6, v14 neg_lo:[1,1,0]
	v_dot4_i32_iu8 v15, v0, v7, v15 neg_lo:[1,1,0]
	s_waitcnt vmcnt(7)
	v_dot4_i32_iu8 v16, v1, v4, v16 neg_lo:[1,1,0]
	v_dot4_i32_iu8 v17, v1, v5, v17 neg_lo:[1,1,0]
	v_dot4_i32_iu8 v18, v1, v6, v18 neg_lo:[1,1,0]
	v_dot4_i32_iu8 v19, v1, v7, v19 neg_lo:[1,1,0]
	;; [unrolled: 5-line block ×7, first 2 shown]
	s_waitcnt vmcnt(1)
	v_dot4_i32_iu8 v0, v3, v8, v46 neg_lo:[1,1,0]
	v_mov_b32_e32 v8, 0x90
	v_dot4_i32_iu8 v1, v3, v9, v47 neg_lo:[1,1,0]
	v_dot4_i32_iu8 v2, v3, v10, v48 neg_lo:[1,1,0]
	;; [unrolled: 1-line block ×3, first 2 shown]
	v_dual_mov_b32 v10, 0x1a0 :: v_dual_mov_b32 v9, s7
	v_mov_b32_e32 v11, s7
	s_getpc_b64 s[0:1]
	s_add_u32 s0, s0, _ZNK2ck6detail15static_for_implINS_8SequenceIJLi1ELi2ELi3ELi4ELi5ELi6ELi7ELi8ELi9ELi10ELi11ELi12ELi13ELi14ELi15EEEEEclIZNKS_80BlockwiseGemmDl_A_BK0_BM_BK1_B_BK0_BN_BK1_C_BM0_BM1_BN0_BN1_pipeline_BM0_2_BN0_2ILi256EaaiKNS_16TensorDescriptorINS_5TupleIJNS_5EmbedINS8_IJNS_17integral_constantIiLi16EEENSA_IiLi128EEENSA_IiLi4EEEEEENS8_IJNSA_IiLi512EEESD_NSA_IiLi1EEEEEELb0EEEEEENS8_IJNS2_IJLi0EEEEEEENS8_IJNS2_IJLi1ELi2ELi3EEEEEEESM_NSA_IlLl8192EEEEESQ_Li4ELi4ELi1ENS2_IJLi8ELi2EEEESR_Li4ELi4ELb0EE3RunINS7_INS8_IJNS_7UnMergeINS8_IJNSA_IiLi2EEESD_SV_SD_EEELb0EEEEEESL_NS8_IJNS2_IJLi1ELi2ELi3ELi4EEEEEEESZ_NSA_IlLl64EEEEENS_13DynamicBufferILNS_16AddressSpaceEnumE2EaSO_Lb1ELNS_22AmdBufferCoherenceEnumE0EiEES16_NS_12StaticBufferILS14_4EiLi64ELb1EEEEEvRKT_RKT0_RKT1_RT2_EUlS19_E_EEvS19_@rel32@lo+4
	s_addc_u32 s1, s1, _ZNK2ck6detail15static_for_implINS_8SequenceIJLi1ELi2ELi3ELi4ELi5ELi6ELi7ELi8ELi9ELi10ELi11ELi12ELi13ELi14ELi15EEEEEclIZNKS_80BlockwiseGemmDl_A_BK0_BM_BK1_B_BK0_BN_BK1_C_BM0_BM1_BN0_BN1_pipeline_BM0_2_BN0_2ILi256EaaiKNS_16TensorDescriptorINS_5TupleIJNS_5EmbedINS8_IJNS_17integral_constantIiLi16EEENSA_IiLi128EEENSA_IiLi4EEEEEENS8_IJNSA_IiLi512EEESD_NSA_IiLi1EEEEEELb0EEEEEENS8_IJNS2_IJLi0EEEEEEENS8_IJNS2_IJLi1ELi2ELi3EEEEEEESM_NSA_IlLl8192EEEEESQ_Li4ELi4ELi1ENS2_IJLi8ELi2EEEESR_Li4ELi4ELb0EE3RunINS7_INS8_IJNS_7UnMergeINS8_IJNSA_IiLi2EEESD_SV_SD_EEELb0EEEEEESL_NS8_IJNS2_IJLi1ELi2ELi3ELi4EEEEEEESZ_NSA_IlLl64EEEEENS_13DynamicBufferILNS_16AddressSpaceEnumE2EaSO_Lb1ELNS_22AmdBufferCoherenceEnumE0EiEES16_NS_12StaticBufferILS14_4EiLi64ELb1EEEEEvRKT_RKT0_RKT1_RT2_EUlS19_E_EEvS19_@rel32@hi+12
	s_clause 0x7
	scratch_store_b128 off, v[12:15], off offset:144
	scratch_store_b128 off, v[24:27], off offset:160
	;; [unrolled: 1-line block ×8, first 2 shown]
	s_waitcnt vmcnt(0) lgkmcnt(0)
	scratch_store_b128 off, v[50:53], off offset:16
	v_dual_mov_b32 v1, s7 :: v_dual_mov_b32 v0, 64
	v_mov_b32_e32 v2, 0x190
	v_mov_b32_e32 v4, 0
	v_dual_mov_b32 v6, 32 :: v_dual_mov_b32 v3, s7
	v_mov_b32_e32 v5, s7
	v_mov_b32_e32 v7, s7
	s_swappc_b64 s[30:31], s[0:1]
	s_clause 0xd
	scratch_load_b32 v36, off, off offset:16
	scratch_load_b32 v62, off, off offset:32
	scratch_load_b128 v[0:3], off, off offset:272
	scratch_load_b128 v[4:7], off, off offset:32
	;; [unrolled: 1-line block ×6, first 2 shown]
	scratch_load_b32 v38, off, off offset:48
	scratch_load_b128 v[28:31], off, off offset:288
	scratch_load_b128 v[42:45], off, off offset:48
	;; [unrolled: 1-line block ×5, first 2 shown]
	v_add_nc_u32_e32 v53, s18, v35
	v_add_nc_u32_e32 v52, s15, v37
	s_mov_b32 s23, s39
	s_lshl_b32 s7, s5, 6
	s_lshl_b32 s18, s17, 6
	s_waitcnt vmcnt(10)
	v_mul_lo_u32 v4, v53, s4
	v_cmp_gt_i32_e64 s0, s2, v52
	v_cmp_gt_i32_e64 s1, s6, v53
	s_mov_b32 s15, s39
	s_lshl_b32 s19, s16, 6
	s_delay_alu instid0(VALU_DEP_1) | instskip(SKIP_1) | instid1(VALU_DEP_4)
	s_and_b32 vcc_lo, s1, s0
	v_dot4_i32_iu8 v32, v36, v62, v0 neg_lo:[1,1,0]
	v_mad_u64_u32 v[50:51], null, v52, s5, v[4:5]
	v_dot4_i32_iu8 v33, v36, v5, v1 neg_lo:[1,1,0]
	v_dot4_i32_iu8 v34, v36, v6, v2 neg_lo:[1,1,0]
	;; [unrolled: 1-line block ×3, first 2 shown]
	s_waitcnt vmcnt(4)
	v_dot4_i32_iu8 v28, v36, v38, v28 neg_lo:[1,1,0]
	s_waitcnt vmcnt(3)
	v_dot4_i32_iu8 v29, v36, v43, v29 neg_lo:[1,1,0]
	v_dot4_i32_iu8 v30, v36, v44, v30 neg_lo:[1,1,0]
	v_dot4_i32_iu8 v31, v36, v45, v31 neg_lo:[1,1,0]
	v_dot4_i32_iu8 v24, v39, v62, v8 neg_lo:[1,1,0]
	v_dot4_i32_iu8 v25, v39, v5, v9 neg_lo:[1,1,0]
	v_dot4_i32_iu8 v26, v39, v6, v10 neg_lo:[1,1,0]
	v_dot4_i32_iu8 v27, v39, v7, v11 neg_lo:[1,1,0]
	v_dot4_i32_iu8 v8, v41, v62, v20 neg_lo:[1,1,0]
	v_dot4_i32_iu8 v9, v41, v5, v21 neg_lo:[1,1,0]
	v_dot4_i32_iu8 v10, v41, v6, v22 neg_lo:[1,1,0]
	v_dot4_i32_iu8 v11, v41, v7, v23 neg_lo:[1,1,0]
	s_waitcnt vmcnt(2)
	v_dot4_i32_iu8 v20, v39, v38, v46 neg_lo:[1,1,0]
	v_dot4_i32_iu8 v21, v39, v43, v47 neg_lo:[1,1,0]
	;; [unrolled: 1-line block ×8, first 2 shown]
	s_waitcnt vmcnt(1)
	v_dot4_i32_iu8 v12, v40, v38, v54 neg_lo:[1,1,0]
	v_dot4_i32_iu8 v13, v40, v43, v55 neg_lo:[1,1,0]
	;; [unrolled: 1-line block ×4, first 2 shown]
	s_waitcnt vmcnt(0)
	v_dot4_i32_iu8 v4, v41, v38, v58 neg_lo:[1,1,0]
	v_dot4_i32_iu8 v5, v41, v43, v59 neg_lo:[1,1,0]
	;; [unrolled: 1-line block ×4, first 2 shown]
	s_clause 0x7
	scratch_store_b128 off, v[32:35], off offset:272
	scratch_store_b128 off, v[28:31], off offset:288
	;; [unrolled: 1-line block ×8, first 2 shown]
	buffer_load_b32 v36, v50, s[20:23], 0 offen
	scratch_load_b128 v[0:3], off, off offset:144
	s_waitcnt vmcnt(1)
	v_cndmask_b32_e32 v40, 0, v36, vcc_lo
	scratch_load_b128 v[36:39], off, off offset:160
	v_or_b32_e32 v55, 1, v53
	v_or_b32_e32 v68, 2, v53
	;; [unrolled: 1-line block ×3, first 2 shown]
	v_lshrrev_b32_e32 v41, 8, v40
	v_lshrrev_b32_e32 v42, 16, v40
	;; [unrolled: 1-line block ×3, first 2 shown]
	s_waitcnt vmcnt(1)
	v_add_nc_u16 v0, v40, v0
	v_add_nc_u32_e32 v40, s7, v50
	v_add_nc_u16 v1, v41, v1
	v_add_nc_u16 v2, v42, v2
	;; [unrolled: 1-line block ×3, first 2 shown]
	v_bfe_i32 v0, v0, 0, 8
	s_delay_alu instid0(VALU_DEP_4) | instskip(NEXT) | instid1(VALU_DEP_4)
	v_bfe_i32 v1, v1, 0, 8
	v_bfe_i32 v2, v2, 0, 8
	s_delay_alu instid0(VALU_DEP_4) | instskip(NEXT) | instid1(VALU_DEP_4)
	v_bfe_i32 v3, v3, 0, 8
	v_max_i16 v0, v0, 0
	s_delay_alu instid0(VALU_DEP_4) | instskip(NEXT) | instid1(VALU_DEP_4)
	v_max_i16 v1, v1, 0
	v_max_i16 v54, v2, 0
	s_delay_alu instid0(VALU_DEP_4) | instskip(NEXT) | instid1(VALU_DEP_4)
	v_max_i16 v3, v3, 0
	v_and_b32_e32 v0, 0xffff, v0
	s_delay_alu instid0(VALU_DEP_4) | instskip(NEXT) | instid1(VALU_DEP_4)
	v_and_b32_e32 v1, 0xffff, v1
	v_and_b32_e32 v2, 0xffff, v54
	s_delay_alu instid0(VALU_DEP_4) | instskip(SKIP_4) | instid1(VALU_DEP_2)
	v_and_b32_e32 v3, 0xffff, v3
	scratch_store_b128 off, v[0:3], off offset:144
	buffer_load_b32 v41, v40, s[20:23], 0 offen
	v_add_nc_u32_e32 v2, 64, v52
	v_lshlrev_b32_e32 v3, 24, v3
	v_cmp_gt_i32_e32 vcc_lo, s2, v2
	s_add_i32 s2, s7, s4
	s_and_b32 s1, s1, vcc_lo
	s_waitcnt vmcnt(0)
	v_cndmask_b32_e64 v41, 0, v41, s1
	s_lshl_b32 s1, s5, 7
	s_delay_alu instid0(SALU_CYCLE_1) | instskip(SKIP_1) | instid1(VALU_DEP_2)
	s_sub_i32 s5, s2, s1
	v_cmp_gt_i32_e64 s1, s6, v55
	v_lshrrev_b32_e32 v42, 8, v41
	v_lshrrev_b32_e32 v43, 16, v41
	;; [unrolled: 1-line block ×3, first 2 shown]
	v_add_nc_u16 v36, v41, v36
	s_and_b32 s2, s1, s0
	v_add_nc_u16 v37, v42, v37
	v_add_nc_u16 v38, v43, v38
	;; [unrolled: 1-line block ×3, first 2 shown]
	v_bfe_i32 v36, v36, 0, 8
	v_add_nc_u32_e32 v44, s5, v40
	v_bfe_i32 v37, v37, 0, 8
	v_bfe_i32 v38, v38, 0, 8
	;; [unrolled: 1-line block ×3, first 2 shown]
	v_max_i16 v36, v36, 0
	scratch_load_b128 v[40:43], off, off offset:176
	v_max_i16 v37, v37, 0
	v_max_i16 v38, v38, 0
	;; [unrolled: 1-line block ×3, first 2 shown]
	v_and_b32_e32 v36, 0xffff, v36
	s_and_b32 s1, s1, vcc_lo
	v_and_b32_e32 v37, 0xffff, v37
	v_and_b32_e32 v38, 0xffff, v38
	;; [unrolled: 1-line block ×3, first 2 shown]
	scratch_store_b128 off, v[36:39], off offset:160
	buffer_load_b32 v36, v44, s[20:23], 0 offen
	s_waitcnt vmcnt(0)
	v_cndmask_b32_e64 v45, 0, v36, s2
	scratch_load_b128 v[36:39], off, off offset:160
	v_lshrrev_b32_e32 v46, 8, v45
	v_lshrrev_b32_e32 v47, 16, v45
	;; [unrolled: 1-line block ×3, first 2 shown]
	v_add_nc_u16 v40, v45, v40
	s_delay_alu instid0(VALU_DEP_4) | instskip(NEXT) | instid1(VALU_DEP_4)
	v_add_nc_u16 v41, v46, v41
	v_add_nc_u16 v42, v47, v42
	s_delay_alu instid0(VALU_DEP_4) | instskip(NEXT) | instid1(VALU_DEP_4)
	v_add_nc_u16 v43, v48, v43
	v_bfe_i32 v40, v40, 0, 8
	v_add_nc_u32_e32 v48, s7, v44
	v_bfe_i32 v41, v41, 0, 8
	v_bfe_i32 v42, v42, 0, 8
	;; [unrolled: 1-line block ×3, first 2 shown]
	v_max_i16 v40, v40, 0
	scratch_load_b128 v[44:47], off, off offset:192
	v_max_i16 v41, v41, 0
	v_max_i16 v42, v42, 0
	;; [unrolled: 1-line block ×3, first 2 shown]
	v_and_b32_e32 v40, 0xffff, v40
	s_delay_alu instid0(VALU_DEP_4) | instskip(NEXT) | instid1(VALU_DEP_4)
	v_and_b32_e32 v41, 0xffff, v41
	v_and_b32_e32 v42, 0xffff, v42
	s_delay_alu instid0(VALU_DEP_4)
	v_and_b32_e32 v43, 0xffff, v43
	scratch_store_b128 off, v[40:43], off offset:176
	buffer_load_b32 v40, v48, s[20:23], 0 offen
	s_waitcnt vmcnt(2)
	v_lshlrev_b32_e32 v37, 8, v37
	v_lshlrev_b32_e32 v38, 16, v38
	;; [unrolled: 1-line block ×3, first 2 shown]
	s_delay_alu instid0(VALU_DEP_3) | instskip(NEXT) | instid1(VALU_DEP_3)
	v_perm_b32 v36, v37, v36, 0xc0c0500
	v_and_b32_e32 v37, 0xff0000, v38
	s_waitcnt vmcnt(0)
	v_cndmask_b32_e64 v49, 0, v40, s1
	scratch_load_b128 v[40:43], off, off offset:176
	v_cmp_gt_i32_e64 s1, s6, v68
	v_lshrrev_b32_e32 v50, 8, v49
	v_lshrrev_b32_e32 v51, 16, v49
	;; [unrolled: 1-line block ×3, first 2 shown]
	v_add_nc_u16 v44, v49, v44
	s_and_b32 s2, s1, s0
	v_add_nc_u16 v45, v50, v45
	v_add_nc_u16 v46, v51, v46
	;; [unrolled: 1-line block ×3, first 2 shown]
	v_bfe_i32 v44, v44, 0, 8
	v_add_nc_u32_e32 v56, s5, v48
	v_bfe_i32 v45, v45, 0, 8
	v_bfe_i32 v46, v46, 0, 8
	;; [unrolled: 1-line block ×3, first 2 shown]
	v_max_i16 v44, v44, 0
	scratch_load_b128 v[48:51], off, off offset:208
	v_max_i16 v45, v45, 0
	v_max_i16 v46, v46, 0
	;; [unrolled: 1-line block ×3, first 2 shown]
	v_and_b32_e32 v44, 0xffff, v44
	s_and_b32 s1, s1, vcc_lo
	v_and_b32_e32 v45, 0xffff, v45
	v_and_b32_e32 v46, 0xffff, v46
	;; [unrolled: 1-line block ×3, first 2 shown]
	scratch_store_b128 off, v[44:47], off offset:192
	buffer_load_b32 v44, v56, s[20:23], 0 offen
	s_waitcnt vmcnt(2)
	v_lshlrev_b32_e32 v41, 8, v41
	v_lshlrev_b32_e32 v42, 16, v42
	s_waitcnt vmcnt(0)
	v_cndmask_b32_e64 v57, 0, v44, s2
	scratch_load_b128 v[44:47], off, off offset:192
	v_lshrrev_b32_e32 v58, 8, v57
	v_lshrrev_b32_e32 v59, 16, v57
	;; [unrolled: 1-line block ×3, first 2 shown]
	v_add_nc_u16 v48, v57, v48
	s_delay_alu instid0(VALU_DEP_4) | instskip(NEXT) | instid1(VALU_DEP_4)
	v_add_nc_u16 v49, v58, v49
	v_add_nc_u16 v50, v59, v50
	s_delay_alu instid0(VALU_DEP_4) | instskip(NEXT) | instid1(VALU_DEP_4)
	v_add_nc_u16 v51, v60, v51
	v_bfe_i32 v48, v48, 0, 8
	v_add_nc_u32_e32 v60, s7, v56
	v_bfe_i32 v49, v49, 0, 8
	v_bfe_i32 v50, v50, 0, 8
	;; [unrolled: 1-line block ×3, first 2 shown]
	v_max_i16 v48, v48, 0
	scratch_load_b128 v[56:59], off, off offset:224
	v_max_i16 v49, v49, 0
	v_max_i16 v50, v50, 0
	;; [unrolled: 1-line block ×3, first 2 shown]
	v_and_b32_e32 v48, 0xffff, v48
	s_delay_alu instid0(VALU_DEP_4) | instskip(NEXT) | instid1(VALU_DEP_4)
	v_and_b32_e32 v49, 0xffff, v49
	v_and_b32_e32 v50, 0xffff, v50
	s_delay_alu instid0(VALU_DEP_4)
	v_and_b32_e32 v51, 0xffff, v51
	scratch_store_b128 off, v[48:51], off offset:208
	buffer_load_b32 v48, v60, s[20:23], 0 offen
	s_waitcnt vmcnt(0)
	v_cndmask_b32_e64 v61, 0, v48, s1
	scratch_load_b128 v[48:51], off, off offset:208
	v_cmp_gt_i32_e64 s1, s6, v69
	v_lshrrev_b32_e32 v62, 8, v61
	v_lshrrev_b32_e32 v63, 16, v61
	;; [unrolled: 1-line block ×3, first 2 shown]
	v_add_nc_u16 v56, v61, v56
	s_and_b32 s2, s1, s0
	v_add_nc_u16 v57, v62, v57
	v_add_nc_u16 v58, v63, v58
	;; [unrolled: 1-line block ×3, first 2 shown]
	v_bfe_i32 v56, v56, 0, 8
	v_add_nc_u32_e32 v64, s5, v60
	v_bfe_i32 v57, v57, 0, 8
	v_bfe_i32 v58, v58, 0, 8
	;; [unrolled: 1-line block ×3, first 2 shown]
	v_max_i16 v56, v56, 0
	s_and_b32 s1, s1, vcc_lo
	v_max_i16 v57, v57, 0
	v_max_i16 v58, v58, 0
	;; [unrolled: 1-line block ×3, first 2 shown]
	v_and_b32_e32 v56, 0xffff, v56
	s_delay_alu instid0(VALU_DEP_4) | instskip(NEXT) | instid1(VALU_DEP_4)
	v_and_b32_e32 v57, 0xffff, v57
	v_and_b32_e32 v58, 0xffff, v58
	s_delay_alu instid0(VALU_DEP_4)
	v_and_b32_e32 v59, 0xffff, v59
	scratch_store_b128 off, v[56:59], off offset:224
	buffer_load_b32 v60, v64, s[20:23], 0 offen
	scratch_load_b128 v[56:59], off, off offset:240
	s_waitcnt vmcnt(1)
	v_cndmask_b32_e64 v65, 0, v60, s2
	scratch_load_b128 v[60:63], off, off offset:224
	v_lshrrev_b32_e32 v66, 8, v65
	v_lshrrev_b32_e32 v67, 16, v65
	;; [unrolled: 1-line block ×3, first 2 shown]
	s_waitcnt vmcnt(1)
	v_add_nc_u16 v56, v65, v56
	v_add_nc_u16 v57, v66, v57
	;; [unrolled: 1-line block ×4, first 2 shown]
	s_delay_alu instid0(VALU_DEP_4)
	v_bfe_i32 v56, v56, 0, 8
	v_add_nc_u32_e32 v70, s7, v64
	v_bfe_i32 v57, v57, 0, 8
	v_bfe_i32 v58, v58, 0, 8
	;; [unrolled: 1-line block ×3, first 2 shown]
	v_max_i16 v56, v56, 0
	s_delay_alu instid0(VALU_DEP_4) | instskip(NEXT) | instid1(VALU_DEP_4)
	v_max_i16 v57, v57, 0
	v_max_i16 v58, v58, 0
	s_delay_alu instid0(VALU_DEP_4) | instskip(NEXT) | instid1(VALU_DEP_4)
	v_max_i16 v59, v59, 0
	v_and_b32_e32 v56, 0xffff, v56
	s_delay_alu instid0(VALU_DEP_4) | instskip(NEXT) | instid1(VALU_DEP_4)
	v_and_b32_e32 v57, 0xffff, v57
	v_and_b32_e32 v58, 0xffff, v58
	s_delay_alu instid0(VALU_DEP_4)
	v_and_b32_e32 v59, 0xffff, v59
	scratch_store_b128 off, v[56:59], off offset:240
	buffer_load_b32 v64, v70, s[20:23], 0 offen
	scratch_load_b128 v[56:59], off, off offset:256
	s_waitcnt vmcnt(1)
	v_cndmask_b32_e64 v71, 0, v64, s1
	scratch_load_b128 v[64:67], off, off offset:240
	s_mul_i32 s1, s4, 60
	v_cmp_gt_i32_e64 s4, s11, v69
	v_add3_u32 v70, s5, s1, v70
	v_lshrrev_b32_e32 v72, 8, v71
	v_lshrrev_b32_e32 v73, 16, v71
	v_lshrrev_b32_e32 v74, 24, v71
	s_waitcnt vmcnt(1)
	v_add_nc_u16 v56, v71, v56
	v_add_nc_u32_e32 v71, 64, v53
	v_add_nc_u16 v57, v72, v57
	v_add_nc_u16 v58, v73, v58
	;; [unrolled: 1-line block ×3, first 2 shown]
	v_bfe_i32 v56, v56, 0, 8
	v_cmp_gt_i32_e64 s1, s6, v71
	v_bfe_i32 v57, v57, 0, 8
	v_bfe_i32 v58, v58, 0, 8
	;; [unrolled: 1-line block ×3, first 2 shown]
	v_max_i16 v56, v56, 0
	s_and_b32 s2, s1, s0
	v_max_i16 v57, v57, 0
	v_max_i16 v58, v58, 0
	;; [unrolled: 1-line block ×3, first 2 shown]
	v_and_b32_e32 v56, 0xffff, v56
	s_and_b32 s1, s1, vcc_lo
	v_and_b32_e32 v57, 0xffff, v57
	v_and_b32_e32 v58, 0xffff, v58
	v_and_b32_e32 v59, 0xffff, v59
	v_add_nc_u32_e32 v72, 0x42, v53
	v_add_nc_u32_e32 v73, 0x43, v53
	scratch_store_b128 off, v[56:59], off offset:256
	buffer_load_b32 v56, v70, s[20:23], 0 offen
	v_cmp_ge_i32_e64 s8, s11, v72
	s_waitcnt vmcnt(0)
	v_cndmask_b32_e64 v56, 0, v56, s2
	s_delay_alu instid0(VALU_DEP_1)
	v_lshrrev_b32_e32 v57, 8, v56
	v_lshrrev_b32_e32 v58, 16, v56
	;; [unrolled: 1-line block ×3, first 2 shown]
	v_add_nc_u16 v32, v56, v32
	v_add_nc_u32_e32 v56, s7, v70
	v_add_nc_u16 v33, v57, v33
	v_add_nc_u16 v34, v58, v34
	;; [unrolled: 1-line block ×3, first 2 shown]
	v_bfe_i32 v32, v32, 0, 8
	v_add_nc_u32_e32 v70, 0x41, v53
	v_bfe_i32 v33, v33, 0, 8
	v_bfe_i32 v34, v34, 0, 8
	;; [unrolled: 1-line block ×3, first 2 shown]
	v_max_i16 v32, v32, 0
	v_cmp_gt_i32_e64 s9, s11, v70
	v_max_i16 v33, v33, 0
	v_max_i16 v34, v34, 0
	;; [unrolled: 1-line block ×3, first 2 shown]
	v_and_b32_e32 v32, 0xffff, v32
	v_cmp_ge_i32_e64 s10, s11, v70
	v_and_b32_e32 v33, 0xffff, v33
	v_and_b32_e32 v34, 0xffff, v34
	;; [unrolled: 1-line block ×3, first 2 shown]
	scratch_store_b128 off, v[32:35], off offset:272
	buffer_load_b32 v32, v56, s[20:23], 0 offen
	s_waitcnt vmcnt(0)
	v_cndmask_b32_e64 v32, 0, v32, s1
	v_cmp_gt_i32_e64 s1, s6, v70
	s_delay_alu instid0(VALU_DEP_2)
	v_lshrrev_b32_e32 v33, 8, v32
	v_lshrrev_b32_e32 v34, 16, v32
	;; [unrolled: 1-line block ×3, first 2 shown]
	v_add_nc_u16 v28, v32, v28
	v_add_nc_u32_e32 v32, s5, v56
	v_add_nc_u16 v29, v33, v29
	v_add_nc_u16 v30, v34, v30
	;; [unrolled: 1-line block ×3, first 2 shown]
	v_bfe_i32 v28, v28, 0, 8
	s_and_b32 s2, s1, s0
	v_bfe_i32 v29, v29, 0, 8
	v_bfe_i32 v30, v30, 0, 8
	;; [unrolled: 1-line block ×3, first 2 shown]
	v_max_i16 v28, v28, 0
	s_and_b32 s1, s1, vcc_lo
	v_max_i16 v29, v29, 0
	v_max_i16 v30, v30, 0
	;; [unrolled: 1-line block ×3, first 2 shown]
	v_and_b32_e32 v28, 0xffff, v28
	s_delay_alu instid0(VALU_DEP_4) | instskip(NEXT) | instid1(VALU_DEP_4)
	v_and_b32_e32 v29, 0xffff, v29
	v_and_b32_e32 v30, 0xffff, v30
	s_delay_alu instid0(VALU_DEP_4) | instskip(SKIP_4) | instid1(VALU_DEP_1)
	v_and_b32_e32 v31, 0xffff, v31
	scratch_store_b128 off, v[28:31], off offset:288
	buffer_load_b32 v28, v32, s[20:23], 0 offen
	s_waitcnt vmcnt(0)
	v_cndmask_b32_e64 v28, 0, v28, s2
	v_lshrrev_b32_e32 v29, 8, v28
	v_lshrrev_b32_e32 v30, 16, v28
	;; [unrolled: 1-line block ×3, first 2 shown]
	v_add_nc_u16 v24, v28, v24
	v_add_nc_u32_e32 v28, s7, v32
	v_add_nc_u16 v25, v29, v25
	v_add_nc_u16 v26, v30, v26
	;; [unrolled: 1-line block ×3, first 2 shown]
	v_bfe_i32 v24, v24, 0, 8
	s_delay_alu instid0(VALU_DEP_4) | instskip(NEXT) | instid1(VALU_DEP_4)
	v_bfe_i32 v25, v25, 0, 8
	v_bfe_i32 v26, v26, 0, 8
	s_delay_alu instid0(VALU_DEP_4) | instskip(NEXT) | instid1(VALU_DEP_4)
	v_bfe_i32 v27, v27, 0, 8
	v_max_i16 v24, v24, 0
	s_delay_alu instid0(VALU_DEP_4) | instskip(NEXT) | instid1(VALU_DEP_4)
	v_max_i16 v25, v25, 0
	v_max_i16 v26, v26, 0
	s_delay_alu instid0(VALU_DEP_4) | instskip(NEXT) | instid1(VALU_DEP_4)
	v_max_i16 v27, v27, 0
	v_and_b32_e32 v24, 0xffff, v24
	s_delay_alu instid0(VALU_DEP_4) | instskip(NEXT) | instid1(VALU_DEP_4)
	v_and_b32_e32 v25, 0xffff, v25
	v_and_b32_e32 v26, 0xffff, v26
	s_delay_alu instid0(VALU_DEP_4)
	v_and_b32_e32 v27, 0xffff, v27
	scratch_store_b128 off, v[24:27], off offset:304
	buffer_load_b32 v24, v28, s[20:23], 0 offen
	s_waitcnt vmcnt(0)
	v_cndmask_b32_e64 v24, 0, v24, s1
	v_cmp_gt_i32_e64 s1, s6, v72
	s_delay_alu instid0(VALU_DEP_2)
	v_lshrrev_b32_e32 v25, 8, v24
	v_lshrrev_b32_e32 v26, 16, v24
	;; [unrolled: 1-line block ×3, first 2 shown]
	v_add_nc_u16 v20, v24, v20
	v_add_nc_u32_e32 v24, s5, v28
	v_add_nc_u16 v21, v25, v21
	v_add_nc_u16 v22, v26, v22
	;; [unrolled: 1-line block ×3, first 2 shown]
	v_bfe_i32 v20, v20, 0, 8
	s_and_b32 s2, s1, s0
	v_bfe_i32 v21, v21, 0, 8
	v_bfe_i32 v22, v22, 0, 8
	;; [unrolled: 1-line block ×3, first 2 shown]
	v_max_i16 v20, v20, 0
	s_and_b32 s1, s1, vcc_lo
	v_max_i16 v21, v21, 0
	v_max_i16 v22, v22, 0
	;; [unrolled: 1-line block ×3, first 2 shown]
	v_and_b32_e32 v20, 0xffff, v20
	s_delay_alu instid0(VALU_DEP_4) | instskip(NEXT) | instid1(VALU_DEP_4)
	v_and_b32_e32 v21, 0xffff, v21
	v_and_b32_e32 v22, 0xffff, v22
	s_delay_alu instid0(VALU_DEP_4)
	v_and_b32_e32 v23, 0xffff, v23
	scratch_store_b128 off, v[20:23], off offset:320
	buffer_load_b32 v20, v24, s[20:23], 0 offen
	s_waitcnt vmcnt(0)
	v_cndmask_b32_e64 v20, 0, v20, s2
	v_cmp_gt_i32_e64 s2, s11, v55
	s_delay_alu instid0(VALU_DEP_2)
	v_lshrrev_b32_e32 v21, 8, v20
	v_lshrrev_b32_e32 v22, 16, v20
	;; [unrolled: 1-line block ×3, first 2 shown]
	v_add_nc_u16 v16, v20, v16
	v_add_nc_u32_e32 v20, s7, v24
	v_add_nc_u16 v17, v21, v17
	v_add_nc_u16 v18, v22, v18
	;; [unrolled: 1-line block ×3, first 2 shown]
	v_bfe_i32 v16, v16, 0, 8
	s_delay_alu instid0(VALU_DEP_4) | instskip(NEXT) | instid1(VALU_DEP_4)
	v_bfe_i32 v17, v17, 0, 8
	v_bfe_i32 v18, v18, 0, 8
	s_delay_alu instid0(VALU_DEP_4) | instskip(NEXT) | instid1(VALU_DEP_4)
	v_bfe_i32 v19, v19, 0, 8
	v_max_i16 v16, v16, 0
	s_delay_alu instid0(VALU_DEP_4) | instskip(NEXT) | instid1(VALU_DEP_4)
	v_max_i16 v17, v17, 0
	v_max_i16 v18, v18, 0
	s_delay_alu instid0(VALU_DEP_4) | instskip(NEXT) | instid1(VALU_DEP_4)
	v_max_i16 v19, v19, 0
	v_and_b32_e32 v16, 0xffff, v16
	s_delay_alu instid0(VALU_DEP_4) | instskip(NEXT) | instid1(VALU_DEP_4)
	v_and_b32_e32 v17, 0xffff, v17
	v_and_b32_e32 v18, 0xffff, v18
	s_delay_alu instid0(VALU_DEP_4)
	v_and_b32_e32 v19, 0xffff, v19
	scratch_store_b128 off, v[16:19], off offset:336
	buffer_load_b32 v16, v20, s[20:23], 0 offen
	s_waitcnt vmcnt(0)
	v_cndmask_b32_e64 v16, 0, v16, s1
	v_cmp_gt_i32_e64 s1, s6, v73
	v_cmp_ge_i32_e64 s6, s11, v73
	s_delay_alu instid0(VALU_DEP_3)
	v_lshrrev_b32_e32 v17, 8, v16
	v_lshrrev_b32_e32 v18, 16, v16
	;; [unrolled: 1-line block ×3, first 2 shown]
	v_add_nc_u16 v12, v16, v12
	v_add_nc_u32_e32 v16, s5, v20
	v_add_nc_u16 v13, v17, v13
	v_add_nc_u16 v14, v18, v14
	;; [unrolled: 1-line block ×3, first 2 shown]
	v_bfe_i32 v12, v12, 0, 8
	s_and_b32 s0, s1, s0
	v_bfe_i32 v13, v13, 0, 8
	v_bfe_i32 v14, v14, 0, 8
	;; [unrolled: 1-line block ×3, first 2 shown]
	v_max_i16 v12, v12, 0
	s_and_b32 vcc_lo, s1, vcc_lo
	v_max_i16 v13, v13, 0
	v_max_i16 v14, v14, 0
	;; [unrolled: 1-line block ×3, first 2 shown]
	v_and_b32_e32 v12, 0xffff, v12
	v_cmp_gt_i32_e64 s5, s11, v73
	v_and_b32_e32 v13, 0xffff, v13
	v_and_b32_e32 v14, 0xffff, v14
	;; [unrolled: 1-line block ×3, first 2 shown]
	scratch_store_b128 off, v[12:15], off offset:352
	buffer_load_b32 v12, v16, s[20:23], 0 offen
	s_waitcnt vmcnt(0)
	v_cndmask_b32_e64 v12, 0, v12, s0
	v_cmp_gt_i32_e64 s0, s11, v53
	v_mul_lo_u32 v53, v53, s16
	s_delay_alu instid0(VALU_DEP_3)
	v_lshrrev_b32_e32 v13, 8, v12
	v_lshrrev_b32_e32 v14, 16, v12
	;; [unrolled: 1-line block ×3, first 2 shown]
	v_add_nc_u16 v8, v12, v8
	v_add_nc_u32_e32 v12, s7, v16
	v_add_nc_u16 v9, v13, v9
	v_add_nc_u16 v10, v14, v10
	;; [unrolled: 1-line block ×3, first 2 shown]
	v_bfe_i32 v8, v8, 0, 8
	v_cmp_gt_i32_e64 s7, s11, v72
	v_bfe_i32 v9, v9, 0, 8
	v_bfe_i32 v10, v10, 0, 8
	;; [unrolled: 1-line block ×3, first 2 shown]
	v_max_i16 v8, v8, 0
	s_delay_alu instid0(VALU_DEP_4) | instskip(NEXT) | instid1(VALU_DEP_4)
	v_max_i16 v9, v9, 0
	v_max_i16 v10, v10, 0
	s_delay_alu instid0(VALU_DEP_4) | instskip(NEXT) | instid1(VALU_DEP_4)
	v_max_i16 v11, v11, 0
	v_and_b32_e32 v8, 0xffff, v8
	s_delay_alu instid0(VALU_DEP_4) | instskip(NEXT) | instid1(VALU_DEP_4)
	v_and_b32_e32 v9, 0xffff, v9
	v_and_b32_e32 v10, 0xffff, v10
	s_delay_alu instid0(VALU_DEP_4)
	v_and_b32_e32 v11, 0xffff, v11
	scratch_store_b128 off, v[8:11], off offset:368
	buffer_load_b32 v20, v12, s[20:23], 0 offen
	s_clause 0x2
	scratch_load_b128 v[8:11], off, off offset:256
	scratch_load_b128 v[12:15], off, off offset:272
	scratch_load_b128 v[16:19], off, off offset:304
	s_add_i32 s20, s17, s16
	s_waitcnt vmcnt(2)
	v_dual_cndmask_b32 v24, 0, v20 :: v_dual_lshlrev_b32 v9, 8, v9
	scratch_load_b128 v[20:23], off, off offset:288
	v_cmp_gt_i32_e32 vcc_lo, s3, v52
	v_lshlrev_b32_e32 v10, 16, v10
	v_lshlrev_b32_e32 v11, 24, v11
	v_lshrrev_b32_e32 v25, 8, v24
	v_lshrrev_b32_e32 v28, 16, v24
	;; [unrolled: 1-line block ×3, first 2 shown]
	v_add_nc_u16 v4, v24, v4
	s_and_b32 s1, s0, vcc_lo
	v_add_nc_u16 v5, v25, v5
	v_add_nc_u16 v6, v28, v6
	scratch_load_b128 v[28:31], off, off offset:320
	v_add_nc_u16 v7, v32, v7
	v_bfe_i32 v4, v4, 0, 8
	v_bfe_i32 v5, v5, 0, 8
	;; [unrolled: 1-line block ×3, first 2 shown]
	scratch_load_b128 v[24:27], off, off offset:336
	v_bfe_i32 v32, v7, 0, 8
	v_max_i16 v56, v4, 0
	v_max_i16 v57, v5, 0
	;; [unrolled: 1-line block ×3, first 2 shown]
	scratch_load_b128 v[4:7], off, off offset:368
	v_max_i16 v59, v32, 0
	v_and_b32_e32 v56, 0xffff, v56
	v_and_b32_e32 v57, 0xffff, v57
	;; [unrolled: 1-line block ×3, first 2 shown]
	scratch_load_b128 v[32:35], off, off offset:352
	v_and_b32_e32 v59, 0xffff, v59
	v_cndmask_b32_e64 v74, 0x80000000, 0, s1
	v_cmp_gt_i32_e64 s1, s3, v2
	v_cmp_gt_i32_e64 s3, s11, v68
	v_mad_u64_u32 v[68:69], null, v52, s17, v[53:54]
	scratch_store_b128 off, v[56:59], off offset:384
	scratch_load_b128 v[56:59], off, off offset:384
	s_and_b32 s0, s0, s1
	v_perm_b32 v8, v9, v8, 0xc0c0500
	v_cndmask_b32_e64 v2, 0x80000000, 0, s0
	s_and_b32 s0, s2, s1
	v_add_nc_u32_e32 v52, s18, v68
	v_and_b32_e32 v9, 0xff0000, v10
	s_waitcnt vmcnt(7)
	v_lshlrev_b32_e32 v13, 8, v13
	v_lshlrev_b32_e32 v14, 16, v14
	v_cndmask_b32_e64 v53, 0x80000000, 0, s0
	v_add_nc_u32_e32 v69, s16, v52
	s_and_b32 s0, s2, vcc_lo
	v_lshlrev_b32_e32 v54, 16, v54
	v_cndmask_b32_e64 v55, 0x80000000, 0, s0
	s_and_b32 s0, s3, vcc_lo
	v_add_nc_u32_e32 v72, s16, v69
	v_cndmask_b32_e64 v70, 0x80000000, 0, s0
	s_and_b32 s0, s3, s1
	v_or3_b32 v8, v8, v9, v11
	v_perm_b32 v11, v13, v12, 0xc0c0500
	v_add_nc_u32_e32 v76, s16, v72
	v_and_b32_e32 v12, 0xff0000, v14
	s_waitcnt vmcnt(6)
	v_lshlrev_b32_e32 v13, 8, v17
	v_lshlrev_b32_e32 v14, 16, v18
	v_cmp_gt_i32_e64 s11, s11, v71
	v_subrev_nc_u32_e32 v79, s18, v76
	v_cndmask_b32_e64 v71, 0x80000000, 0, s0
	s_and_b32 s0, s4, s1
	v_lshl_or_b32 v1, v1, 8, v54
	v_cndmask_b32_e64 v73, 0x80000000, 0, s0
	v_lshl_add_u32 v82, s20, 6, v79
	s_and_b32 s0, s4, vcc_lo
	v_lshlrev_b32_e32 v9, 24, v15
	v_lshlrev_b32_e32 v15, 24, v19
	v_perm_b32 v13, v13, v16, 0xc0c0500
	v_subrev_nc_u32_e32 v85, s16, v82
	v_and_b32_e32 v14, 0xff0000, v14
	v_cndmask_b32_e64 v75, 0x80000000, 0, s0
	s_and_b32 s0, s5, vcc_lo
	v_or3_b32 v0, v3, v1, v0
	v_or3_b32 v1, v36, v37, v39
	v_lshlrev_b32_e32 v3, 24, v43
	v_perm_b32 v36, v41, v40, 0xc0c0500
	v_and_b32_e32 v37, 0xff0000, v42
	v_lshlrev_b32_e32 v39, 8, v45
	v_lshlrev_b32_e32 v40, 16, v46
	;; [unrolled: 1-line block ×4, first 2 shown]
	v_cndmask_b32_e64 v77, 0x80000000, 0, s0
	s_and_b32 s0, s5, s1
	v_add_nc_u32_e32 v88, s16, v68
	v_cndmask_b32_e64 v78, 0x80000000, 0, s0
	s_and_b32 s0, s6, s1
	v_subrev_nc_u32_e32 v89, s18, v85
	v_or3_b32 v13, v13, v14, v15
	v_cndmask_b32_e64 v80, 0x80000000, 0, s0
	s_and_b32 s0, s7, vcc_lo
	v_lshlrev_b32_e32 v41, 24, v47
	v_perm_b32 v39, v39, v44, 0xc0c0500
	v_and_b32_e32 v40, 0xff0000, v40
	v_lshlrev_b32_e32 v44, 24, v51
	v_perm_b32 v42, v42, v48, 0xc0c0500
	v_and_b32_e32 v43, 0xff0000, v43
	v_cndmask_b32_e64 v81, 0x80000000, 0, s0
	s_and_b32 s0, s8, vcc_lo
	v_add_nc_u32_e32 v2, v2, v52
	v_add_nc_u32_e32 v52, v88, v55
	v_subrev_nc_u32_e32 v55, s16, v89
	v_or3_b32 v3, v36, v37, v3
	v_lshlrev_b32_e32 v36, 8, v61
	v_lshlrev_b32_e32 v37, 16, v62
	v_or3_b32 v9, v11, v12, v9
	v_cndmask_b32_e64 v83, 0x80000000, 0, s0
	s_and_b32 s0, s9, s1
	v_or3_b32 v39, v39, v40, v41
	v_or3_b32 v40, v42, v43, v44
	v_lshlrev_b32_e32 v42, 8, v65
	v_lshlrev_b32_e32 v43, 16, v66
	v_cndmask_b32_e64 v84, 0x80000000, 0, s0
	s_and_b32 s0, s11, vcc_lo
	v_add_nc_u32_e32 v68, v74, v68
	v_cndmask_b32_e64 v86, 0x80000000, 0, s0
	v_add_nc_u32_e32 v53, v53, v69
	v_add_nc_u32_e32 v69, v72, v71
	;; [unrolled: 1-line block ×3, first 2 shown]
	v_lshlrev_b32_e32 v41, 24, v63
	v_perm_b32 v36, v36, v60, 0xc0c0500
	v_and_b32_e32 v37, 0xff0000, v37
	v_lshlrev_b32_e32 v44, 24, v67
	v_perm_b32 v42, v42, v64, 0xc0c0500
	v_and_b32_e32 v43, 0xff0000, v43
	s_and_b32 s0, s10, s1
	buffer_store_b32 v0, v68, s[12:15], 0 offen
	v_cndmask_b32_e64 v87, 0x80000000, 0, s0
	v_subrev_nc_u32_e32 v86, s18, v86
	v_add3_u32 v74, v77, s19, v79
	v_subrev_nc_u32_e32 v77, s16, v72
	v_or3_b32 v10, v36, v37, v41
	v_add_nc_u32_e32 v71, v76, v73
	v_add_nc_u32_e32 v73, v79, v75
	v_or3_b32 v36, v42, v43, v44
	v_add3_u32 v70, v70, s16, v88
	v_add_nc_u32_e32 v75, v82, v78
	v_add_nc_u32_e32 v76, v85, v80
	v_add_nc_u32_e32 v78, v89, v81
	v_add_nc_u32_e32 v55, v55, v83
	v_add_nc_u32_e32 v72, v72, v84
	v_add_nc_u32_e32 v79, v77, v87
	v_add_nc_u32_e32 v38, v86, v77
	s_clause 0x3
	buffer_store_b32 v1, v2, s[12:15], 0 offen
	buffer_store_b32 v39, v53, s[12:15], 0 offen
	;; [unrolled: 1-line block ×4, first 2 shown]
	s_waitcnt vmcnt(5)
	v_lshlrev_b32_e32 v17, 8, v21
	v_lshlrev_b32_e32 v18, 16, v22
	;; [unrolled: 1-line block ×3, first 2 shown]
	s_delay_alu instid0(VALU_DEP_3) | instskip(NEXT) | instid1(VALU_DEP_3)
	v_perm_b32 v12, v17, v20, 0xc0c0500
	v_and_b32_e32 v16, 0xff0000, v18
	s_waitcnt vmcnt(4)
	v_lshlrev_b32_e32 v18, 8, v29
	v_lshlrev_b32_e32 v19, 16, v30
	s_delay_alu instid0(VALU_DEP_3)
	v_or3_b32 v11, v12, v16, v11
	v_lshlrev_b32_e32 v12, 24, v31
	s_waitcnt vmcnt(3)
	v_lshlrev_b32_e32 v14, 8, v25
	v_lshlrev_b32_e32 v15, 16, v26
	;; [unrolled: 1-line block ×3, first 2 shown]
	v_perm_b32 v16, v18, v28, 0xc0c0500
	v_and_b32_e32 v18, 0xff0000, v19
	s_waitcnt vmcnt(2)
	v_lshlrev_b32_e32 v5, 8, v5
	v_lshlrev_b32_e32 v6, 16, v6
	;; [unrolled: 1-line block ×3, first 2 shown]
	v_perm_b32 v14, v14, v24, 0xc0c0500
	v_and_b32_e32 v15, 0xff0000, v15
	v_perm_b32 v4, v5, v4, 0xc0c0500
	v_and_b32_e32 v5, 0xff0000, v6
	s_waitcnt vmcnt(1)
	v_lshlrev_b32_e32 v6, 24, v35
	v_or3_b32 v12, v16, v18, v12
	v_or3_b32 v14, v14, v15, v17
	v_lshlrev_b32_e32 v15, 8, v33
	v_or3_b32 v4, v4, v5, v7
	v_lshlrev_b32_e32 v17, 16, v34
	s_waitcnt vmcnt(0)
	v_lshlrev_b32_e32 v5, 8, v57
	v_lshlrev_b32_e32 v7, 16, v58
	;; [unrolled: 1-line block ×3, first 2 shown]
	v_perm_b32 v15, v15, v32, 0xc0c0500
	v_and_b32_e32 v17, 0xff0000, v17
	v_perm_b32 v5, v5, v56, 0xc0c0500
	v_and_b32_e32 v7, 0xff0000, v7
	s_delay_alu instid0(VALU_DEP_3) | instskip(NEXT) | instid1(VALU_DEP_2)
	v_or3_b32 v6, v15, v17, v6
	v_or3_b32 v0, v5, v7, v0
	s_clause 0xa
	buffer_store_b32 v10, v69, s[12:15], 0 offen
	buffer_store_b32 v8, v71, s[12:15], 0 offen
	buffer_store_b32 v36, v73, s[12:15], 0 offen
	buffer_store_b32 v4, v74, s[12:15], 0 offen
	buffer_store_b32 v0, v75, s[12:15], 0 offen
	buffer_store_b32 v6, v76, s[12:15], 0 offen
	buffer_store_b32 v14, v78, s[12:15], 0 offen
	buffer_store_b32 v13, v55, s[12:15], 0 offen
	buffer_store_b32 v12, v72, s[12:15], 0 offen
	buffer_store_b32 v11, v79, s[12:15], 0 offen
	buffer_store_b32 v9, v38, s[12:15], 0 offen
	s_endpgm
	.section	.rodata,"a",@progbits
	.p2align	6, 0x0
	.amdhsa_kernel _ZN2ck16tensor_operation6device12_GLOBAL__N_137kernel_grouped_conv_fwd_dl_multiple_dINS_32GridwiseGemmDlMultipleD_km_kn_mnILi256EaiNS_5TupleIJaEEEaNS0_12element_wise11PassThroughES8_NS7_7AddReluELNS_25InMemoryDataOperationEnumE0ENS_16TensorDescriptorINS5_IJNS_5EmbedINS5_IJiiiEEESD_Lb0EEENS_11PassThroughIiEENS_3PadIiiiLb0EEESG_SG_NSC_INS5_IJiiEEESJ_Lb0EEESG_NS_23Merge_v2_magic_divisionISJ_EESM_NS_8RightPadIiiLb0EEESO_NS_7UnMergeISJ_Lb0EEESG_EEENS5_IJNS_8SequenceIJLi0EEEENSS_IJLi1EEEENSS_IJLi2EEEENSS_IJLi3EEEENSS_IJLi4EEEENSS_IJLi5EEEENSS_IJLi6EEEENSS_IJLi7ELi9EEEENSS_IJLi8ELi10EEEENSS_IJLi11EEEENSS_IJLi12EEEENSS_IJLi14EEEENSS_IJLi13EEEEEEENS5_IJNSS_IJLi1ELi2ELi3EEEESX_SY_SZ_NSS_IJLi7EEEENSS_IJLi8ELi9EEEENSS_IJLi10EEEES12_S13_S15_S14_NSS_IJLi15ELi16EEEENSS_IJLi17EEEEEEENSS_IJLi15ELi17ELi16EEEElEENSB_INS5_IJSQ_SO_SO_SQ_SG_EEENS5_IJST_SU_SV_SX_SW_EEENS5_IJNSS_IJLi1ELi2EEEESW_SX_NSS_IJLi5ELi6EEEES18_EEENSS_IJLi5ELi7ELi6EEEElEENSB_INS5_IJSK_SO_SO_EEENS5_IJST_SU_SV_EEENS5_IJS1I_SW_SX_EEENSS_IJLi3ELi4EEEElEELi128ELi128ELi16ELi4ELi4ELi4ELi1ENSS_IJLi8ELi2EEEES1S_NSS_IJLi8ELi1ELi1ELi4EEEENSS_IJLi2ELi1ELi128ELi1EEEENSS_IJLi1ELi2ELi0ELi3EEEES1V_NSS_IJLi4ELi1ELi1ELi4EEEES1V_NSS_IJLi1ELi1ELi1ELi4EEEES1T_S1U_S1V_S1V_S1W_S1V_S1X_NSS_IJLi0ELi1ELi2ELi3ELi4ELi5EEEELi5ELi4EEEaNS5_IJPKaEEEaS8_S8_S9_NSB_INS5_IJSE_SG_SI_SG_SG_SK_SG_SM_SM_SO_SO_SQ_SG_SG_NSP_INS5_IJiNS_17integral_constantIiLi128EEEEEELb0EEENSF_INS23_IiLi4EEEEEEEENS5_IJST_SU_SV_SW_SX_SY_SZ_S10_S11_S12_S13_S14_S15_NSS_IJLi15EEEES1C_NSS_IJLi16EEEEEEENS5_IJS17_SX_SY_SZ_S18_S19_S1A_S12_S13_S15_S14_S1B_S1C_NSS_IJLi18EEEENSS_IJLi19ELi20EEEENSS_IJLi21EEEEEEENSS_IJLi18ELi19ELi20ELi21EEEElEENSB_INS5_IJSQ_SO_SO_SQ_SG_SG_S26_S28_EEENS5_IJST_SU_SV_SX_SW_SY_S18_SZ_EEENS5_IJS1I_SW_SX_S1J_S18_NSS_IJLi8EEEENSS_IJLi9ELi10EEEES12_EEENSS_IJLi8ELi9ELi10ELi11EEEElEENS5_IJNSB_INS5_IJSK_SO_SO_NSP_INS5_IJiNS23_IiLi2EEENS23_IiLi64EEEEEELb0EEES2T_EEENS5_IJST_SU_SV_SW_SX_EEENS5_IJS1I_SW_SX_NSS_IJLi5ELi6ELi7EEEENSS_IJLi8ELi9ELi10EEEEEEENSS_IJLi5ELi6ELi7ELi8ELi9ELi10EEEElEEEEES30_NS_31BlockToCTileMap_M00_N00_M01_N01ILi128ELi128ES1R_Lb0EEENS1_30ComputePtrOffsetOfStridedBatchILi1ELi1ELi1EvEELb0ELb0EEEvPKT0_S38_T1_PT2_T3_T4_T5_iT6_T7_T8_T9_T10_T11_
		.amdhsa_group_segment_fixed_size 32768
		.amdhsa_private_segment_fixed_size 448
		.amdhsa_kernarg_size 904
		.amdhsa_user_sgpr_count 15
		.amdhsa_user_sgpr_dispatch_ptr 0
		.amdhsa_user_sgpr_queue_ptr 0
		.amdhsa_user_sgpr_kernarg_segment_ptr 1
		.amdhsa_user_sgpr_dispatch_id 0
		.amdhsa_user_sgpr_private_segment_size 0
		.amdhsa_wavefront_size32 1
		.amdhsa_uses_dynamic_stack 0
		.amdhsa_enable_private_segment 1
		.amdhsa_system_sgpr_workgroup_id_x 1
		.amdhsa_system_sgpr_workgroup_id_y 0
		.amdhsa_system_sgpr_workgroup_id_z 0
		.amdhsa_system_sgpr_workgroup_info 0
		.amdhsa_system_vgpr_workitem_id 0
		.amdhsa_next_free_vgpr 90
		.amdhsa_next_free_sgpr 66
		.amdhsa_reserve_vcc 1
		.amdhsa_float_round_mode_32 0
		.amdhsa_float_round_mode_16_64 0
		.amdhsa_float_denorm_mode_32 3
		.amdhsa_float_denorm_mode_16_64 3
		.amdhsa_dx10_clamp 1
		.amdhsa_ieee_mode 1
		.amdhsa_fp16_overflow 0
		.amdhsa_workgroup_processor_mode 1
		.amdhsa_memory_ordered 1
		.amdhsa_forward_progress 0
		.amdhsa_shared_vgpr_count 0
		.amdhsa_exception_fp_ieee_invalid_op 0
		.amdhsa_exception_fp_denorm_src 0
		.amdhsa_exception_fp_ieee_div_zero 0
		.amdhsa_exception_fp_ieee_overflow 0
		.amdhsa_exception_fp_ieee_underflow 0
		.amdhsa_exception_fp_ieee_inexact 0
		.amdhsa_exception_int_div_zero 0
	.end_amdhsa_kernel
	.section	.text._ZN2ck16tensor_operation6device12_GLOBAL__N_137kernel_grouped_conv_fwd_dl_multiple_dINS_32GridwiseGemmDlMultipleD_km_kn_mnILi256EaiNS_5TupleIJaEEEaNS0_12element_wise11PassThroughES8_NS7_7AddReluELNS_25InMemoryDataOperationEnumE0ENS_16TensorDescriptorINS5_IJNS_5EmbedINS5_IJiiiEEESD_Lb0EEENS_11PassThroughIiEENS_3PadIiiiLb0EEESG_SG_NSC_INS5_IJiiEEESJ_Lb0EEESG_NS_23Merge_v2_magic_divisionISJ_EESM_NS_8RightPadIiiLb0EEESO_NS_7UnMergeISJ_Lb0EEESG_EEENS5_IJNS_8SequenceIJLi0EEEENSS_IJLi1EEEENSS_IJLi2EEEENSS_IJLi3EEEENSS_IJLi4EEEENSS_IJLi5EEEENSS_IJLi6EEEENSS_IJLi7ELi9EEEENSS_IJLi8ELi10EEEENSS_IJLi11EEEENSS_IJLi12EEEENSS_IJLi14EEEENSS_IJLi13EEEEEEENS5_IJNSS_IJLi1ELi2ELi3EEEESX_SY_SZ_NSS_IJLi7EEEENSS_IJLi8ELi9EEEENSS_IJLi10EEEES12_S13_S15_S14_NSS_IJLi15ELi16EEEENSS_IJLi17EEEEEEENSS_IJLi15ELi17ELi16EEEElEENSB_INS5_IJSQ_SO_SO_SQ_SG_EEENS5_IJST_SU_SV_SX_SW_EEENS5_IJNSS_IJLi1ELi2EEEESW_SX_NSS_IJLi5ELi6EEEES18_EEENSS_IJLi5ELi7ELi6EEEElEENSB_INS5_IJSK_SO_SO_EEENS5_IJST_SU_SV_EEENS5_IJS1I_SW_SX_EEENSS_IJLi3ELi4EEEElEELi128ELi128ELi16ELi4ELi4ELi4ELi1ENSS_IJLi8ELi2EEEES1S_NSS_IJLi8ELi1ELi1ELi4EEEENSS_IJLi2ELi1ELi128ELi1EEEENSS_IJLi1ELi2ELi0ELi3EEEES1V_NSS_IJLi4ELi1ELi1ELi4EEEES1V_NSS_IJLi1ELi1ELi1ELi4EEEES1T_S1U_S1V_S1V_S1W_S1V_S1X_NSS_IJLi0ELi1ELi2ELi3ELi4ELi5EEEELi5ELi4EEEaNS5_IJPKaEEEaS8_S8_S9_NSB_INS5_IJSE_SG_SI_SG_SG_SK_SG_SM_SM_SO_SO_SQ_SG_SG_NSP_INS5_IJiNS_17integral_constantIiLi128EEEEEELb0EEENSF_INS23_IiLi4EEEEEEEENS5_IJST_SU_SV_SW_SX_SY_SZ_S10_S11_S12_S13_S14_S15_NSS_IJLi15EEEES1C_NSS_IJLi16EEEEEEENS5_IJS17_SX_SY_SZ_S18_S19_S1A_S12_S13_S15_S14_S1B_S1C_NSS_IJLi18EEEENSS_IJLi19ELi20EEEENSS_IJLi21EEEEEEENSS_IJLi18ELi19ELi20ELi21EEEElEENSB_INS5_IJSQ_SO_SO_SQ_SG_SG_S26_S28_EEENS5_IJST_SU_SV_SX_SW_SY_S18_SZ_EEENS5_IJS1I_SW_SX_S1J_S18_NSS_IJLi8EEEENSS_IJLi9ELi10EEEES12_EEENSS_IJLi8ELi9ELi10ELi11EEEElEENS5_IJNSB_INS5_IJSK_SO_SO_NSP_INS5_IJiNS23_IiLi2EEENS23_IiLi64EEEEEELb0EEES2T_EEENS5_IJST_SU_SV_SW_SX_EEENS5_IJS1I_SW_SX_NSS_IJLi5ELi6ELi7EEEENSS_IJLi8ELi9ELi10EEEEEEENSS_IJLi5ELi6ELi7ELi8ELi9ELi10EEEElEEEEES30_NS_31BlockToCTileMap_M00_N00_M01_N01ILi128ELi128ES1R_Lb0EEENS1_30ComputePtrOffsetOfStridedBatchILi1ELi1ELi1EvEELb0ELb0EEEvPKT0_S38_T1_PT2_T3_T4_T5_iT6_T7_T8_T9_T10_T11_,"axG",@progbits,_ZN2ck16tensor_operation6device12_GLOBAL__N_137kernel_grouped_conv_fwd_dl_multiple_dINS_32GridwiseGemmDlMultipleD_km_kn_mnILi256EaiNS_5TupleIJaEEEaNS0_12element_wise11PassThroughES8_NS7_7AddReluELNS_25InMemoryDataOperationEnumE0ENS_16TensorDescriptorINS5_IJNS_5EmbedINS5_IJiiiEEESD_Lb0EEENS_11PassThroughIiEENS_3PadIiiiLb0EEESG_SG_NSC_INS5_IJiiEEESJ_Lb0EEESG_NS_23Merge_v2_magic_divisionISJ_EESM_NS_8RightPadIiiLb0EEESO_NS_7UnMergeISJ_Lb0EEESG_EEENS5_IJNS_8SequenceIJLi0EEEENSS_IJLi1EEEENSS_IJLi2EEEENSS_IJLi3EEEENSS_IJLi4EEEENSS_IJLi5EEEENSS_IJLi6EEEENSS_IJLi7ELi9EEEENSS_IJLi8ELi10EEEENSS_IJLi11EEEENSS_IJLi12EEEENSS_IJLi14EEEENSS_IJLi13EEEEEEENS5_IJNSS_IJLi1ELi2ELi3EEEESX_SY_SZ_NSS_IJLi7EEEENSS_IJLi8ELi9EEEENSS_IJLi10EEEES12_S13_S15_S14_NSS_IJLi15ELi16EEEENSS_IJLi17EEEEEEENSS_IJLi15ELi17ELi16EEEElEENSB_INS5_IJSQ_SO_SO_SQ_SG_EEENS5_IJST_SU_SV_SX_SW_EEENS5_IJNSS_IJLi1ELi2EEEESW_SX_NSS_IJLi5ELi6EEEES18_EEENSS_IJLi5ELi7ELi6EEEElEENSB_INS5_IJSK_SO_SO_EEENS5_IJST_SU_SV_EEENS5_IJS1I_SW_SX_EEENSS_IJLi3ELi4EEEElEELi128ELi128ELi16ELi4ELi4ELi4ELi1ENSS_IJLi8ELi2EEEES1S_NSS_IJLi8ELi1ELi1ELi4EEEENSS_IJLi2ELi1ELi128ELi1EEEENSS_IJLi1ELi2ELi0ELi3EEEES1V_NSS_IJLi4ELi1ELi1ELi4EEEES1V_NSS_IJLi1ELi1ELi1ELi4EEEES1T_S1U_S1V_S1V_S1W_S1V_S1X_NSS_IJLi0ELi1ELi2ELi3ELi4ELi5EEEELi5ELi4EEEaNS5_IJPKaEEEaS8_S8_S9_NSB_INS5_IJSE_SG_SI_SG_SG_SK_SG_SM_SM_SO_SO_SQ_SG_SG_NSP_INS5_IJiNS_17integral_constantIiLi128EEEEEELb0EEENSF_INS23_IiLi4EEEEEEEENS5_IJST_SU_SV_SW_SX_SY_SZ_S10_S11_S12_S13_S14_S15_NSS_IJLi15EEEES1C_NSS_IJLi16EEEEEEENS5_IJS17_SX_SY_SZ_S18_S19_S1A_S12_S13_S15_S14_S1B_S1C_NSS_IJLi18EEEENSS_IJLi19ELi20EEEENSS_IJLi21EEEEEEENSS_IJLi18ELi19ELi20ELi21EEEElEENSB_INS5_IJSQ_SO_SO_SQ_SG_SG_S26_S28_EEENS5_IJST_SU_SV_SX_SW_SY_S18_SZ_EEENS5_IJS1I_SW_SX_S1J_S18_NSS_IJLi8EEEENSS_IJLi9ELi10EEEES12_EEENSS_IJLi8ELi9ELi10ELi11EEEElEENS5_IJNSB_INS5_IJSK_SO_SO_NSP_INS5_IJiNS23_IiLi2EEENS23_IiLi64EEEEEELb0EEES2T_EEENS5_IJST_SU_SV_SW_SX_EEENS5_IJS1I_SW_SX_NSS_IJLi5ELi6ELi7EEEENSS_IJLi8ELi9ELi10EEEEEEENSS_IJLi5ELi6ELi7ELi8ELi9ELi10EEEElEEEEES30_NS_31BlockToCTileMap_M00_N00_M01_N01ILi128ELi128ES1R_Lb0EEENS1_30ComputePtrOffsetOfStridedBatchILi1ELi1ELi1EvEELb0ELb0EEEvPKT0_S38_T1_PT2_T3_T4_T5_iT6_T7_T8_T9_T10_T11_,comdat
.Lfunc_end5:
	.size	_ZN2ck16tensor_operation6device12_GLOBAL__N_137kernel_grouped_conv_fwd_dl_multiple_dINS_32GridwiseGemmDlMultipleD_km_kn_mnILi256EaiNS_5TupleIJaEEEaNS0_12element_wise11PassThroughES8_NS7_7AddReluELNS_25InMemoryDataOperationEnumE0ENS_16TensorDescriptorINS5_IJNS_5EmbedINS5_IJiiiEEESD_Lb0EEENS_11PassThroughIiEENS_3PadIiiiLb0EEESG_SG_NSC_INS5_IJiiEEESJ_Lb0EEESG_NS_23Merge_v2_magic_divisionISJ_EESM_NS_8RightPadIiiLb0EEESO_NS_7UnMergeISJ_Lb0EEESG_EEENS5_IJNS_8SequenceIJLi0EEEENSS_IJLi1EEEENSS_IJLi2EEEENSS_IJLi3EEEENSS_IJLi4EEEENSS_IJLi5EEEENSS_IJLi6EEEENSS_IJLi7ELi9EEEENSS_IJLi8ELi10EEEENSS_IJLi11EEEENSS_IJLi12EEEENSS_IJLi14EEEENSS_IJLi13EEEEEEENS5_IJNSS_IJLi1ELi2ELi3EEEESX_SY_SZ_NSS_IJLi7EEEENSS_IJLi8ELi9EEEENSS_IJLi10EEEES12_S13_S15_S14_NSS_IJLi15ELi16EEEENSS_IJLi17EEEEEEENSS_IJLi15ELi17ELi16EEEElEENSB_INS5_IJSQ_SO_SO_SQ_SG_EEENS5_IJST_SU_SV_SX_SW_EEENS5_IJNSS_IJLi1ELi2EEEESW_SX_NSS_IJLi5ELi6EEEES18_EEENSS_IJLi5ELi7ELi6EEEElEENSB_INS5_IJSK_SO_SO_EEENS5_IJST_SU_SV_EEENS5_IJS1I_SW_SX_EEENSS_IJLi3ELi4EEEElEELi128ELi128ELi16ELi4ELi4ELi4ELi1ENSS_IJLi8ELi2EEEES1S_NSS_IJLi8ELi1ELi1ELi4EEEENSS_IJLi2ELi1ELi128ELi1EEEENSS_IJLi1ELi2ELi0ELi3EEEES1V_NSS_IJLi4ELi1ELi1ELi4EEEES1V_NSS_IJLi1ELi1ELi1ELi4EEEES1T_S1U_S1V_S1V_S1W_S1V_S1X_NSS_IJLi0ELi1ELi2ELi3ELi4ELi5EEEELi5ELi4EEEaNS5_IJPKaEEEaS8_S8_S9_NSB_INS5_IJSE_SG_SI_SG_SG_SK_SG_SM_SM_SO_SO_SQ_SG_SG_NSP_INS5_IJiNS_17integral_constantIiLi128EEEEEELb0EEENSF_INS23_IiLi4EEEEEEEENS5_IJST_SU_SV_SW_SX_SY_SZ_S10_S11_S12_S13_S14_S15_NSS_IJLi15EEEES1C_NSS_IJLi16EEEEEEENS5_IJS17_SX_SY_SZ_S18_S19_S1A_S12_S13_S15_S14_S1B_S1C_NSS_IJLi18EEEENSS_IJLi19ELi20EEEENSS_IJLi21EEEEEEENSS_IJLi18ELi19ELi20ELi21EEEElEENSB_INS5_IJSQ_SO_SO_SQ_SG_SG_S26_S28_EEENS5_IJST_SU_SV_SX_SW_SY_S18_SZ_EEENS5_IJS1I_SW_SX_S1J_S18_NSS_IJLi8EEEENSS_IJLi9ELi10EEEES12_EEENSS_IJLi8ELi9ELi10ELi11EEEElEENS5_IJNSB_INS5_IJSK_SO_SO_NSP_INS5_IJiNS23_IiLi2EEENS23_IiLi64EEEEEELb0EEES2T_EEENS5_IJST_SU_SV_SW_SX_EEENS5_IJS1I_SW_SX_NSS_IJLi5ELi6ELi7EEEENSS_IJLi8ELi9ELi10EEEEEEENSS_IJLi5ELi6ELi7ELi8ELi9ELi10EEEElEEEEES30_NS_31BlockToCTileMap_M00_N00_M01_N01ILi128ELi128ES1R_Lb0EEENS1_30ComputePtrOffsetOfStridedBatchILi1ELi1ELi1EvEELb0ELb0EEEvPKT0_S38_T1_PT2_T3_T4_T5_iT6_T7_T8_T9_T10_T11_, .Lfunc_end5-_ZN2ck16tensor_operation6device12_GLOBAL__N_137kernel_grouped_conv_fwd_dl_multiple_dINS_32GridwiseGemmDlMultipleD_km_kn_mnILi256EaiNS_5TupleIJaEEEaNS0_12element_wise11PassThroughES8_NS7_7AddReluELNS_25InMemoryDataOperationEnumE0ENS_16TensorDescriptorINS5_IJNS_5EmbedINS5_IJiiiEEESD_Lb0EEENS_11PassThroughIiEENS_3PadIiiiLb0EEESG_SG_NSC_INS5_IJiiEEESJ_Lb0EEESG_NS_23Merge_v2_magic_divisionISJ_EESM_NS_8RightPadIiiLb0EEESO_NS_7UnMergeISJ_Lb0EEESG_EEENS5_IJNS_8SequenceIJLi0EEEENSS_IJLi1EEEENSS_IJLi2EEEENSS_IJLi3EEEENSS_IJLi4EEEENSS_IJLi5EEEENSS_IJLi6EEEENSS_IJLi7ELi9EEEENSS_IJLi8ELi10EEEENSS_IJLi11EEEENSS_IJLi12EEEENSS_IJLi14EEEENSS_IJLi13EEEEEEENS5_IJNSS_IJLi1ELi2ELi3EEEESX_SY_SZ_NSS_IJLi7EEEENSS_IJLi8ELi9EEEENSS_IJLi10EEEES12_S13_S15_S14_NSS_IJLi15ELi16EEEENSS_IJLi17EEEEEEENSS_IJLi15ELi17ELi16EEEElEENSB_INS5_IJSQ_SO_SO_SQ_SG_EEENS5_IJST_SU_SV_SX_SW_EEENS5_IJNSS_IJLi1ELi2EEEESW_SX_NSS_IJLi5ELi6EEEES18_EEENSS_IJLi5ELi7ELi6EEEElEENSB_INS5_IJSK_SO_SO_EEENS5_IJST_SU_SV_EEENS5_IJS1I_SW_SX_EEENSS_IJLi3ELi4EEEElEELi128ELi128ELi16ELi4ELi4ELi4ELi1ENSS_IJLi8ELi2EEEES1S_NSS_IJLi8ELi1ELi1ELi4EEEENSS_IJLi2ELi1ELi128ELi1EEEENSS_IJLi1ELi2ELi0ELi3EEEES1V_NSS_IJLi4ELi1ELi1ELi4EEEES1V_NSS_IJLi1ELi1ELi1ELi4EEEES1T_S1U_S1V_S1V_S1W_S1V_S1X_NSS_IJLi0ELi1ELi2ELi3ELi4ELi5EEEELi5ELi4EEEaNS5_IJPKaEEEaS8_S8_S9_NSB_INS5_IJSE_SG_SI_SG_SG_SK_SG_SM_SM_SO_SO_SQ_SG_SG_NSP_INS5_IJiNS_17integral_constantIiLi128EEEEEELb0EEENSF_INS23_IiLi4EEEEEEEENS5_IJST_SU_SV_SW_SX_SY_SZ_S10_S11_S12_S13_S14_S15_NSS_IJLi15EEEES1C_NSS_IJLi16EEEEEEENS5_IJS17_SX_SY_SZ_S18_S19_S1A_S12_S13_S15_S14_S1B_S1C_NSS_IJLi18EEEENSS_IJLi19ELi20EEEENSS_IJLi21EEEEEEENSS_IJLi18ELi19ELi20ELi21EEEElEENSB_INS5_IJSQ_SO_SO_SQ_SG_SG_S26_S28_EEENS5_IJST_SU_SV_SX_SW_SY_S18_SZ_EEENS5_IJS1I_SW_SX_S1J_S18_NSS_IJLi8EEEENSS_IJLi9ELi10EEEES12_EEENSS_IJLi8ELi9ELi10ELi11EEEElEENS5_IJNSB_INS5_IJSK_SO_SO_NSP_INS5_IJiNS23_IiLi2EEENS23_IiLi64EEEEEELb0EEES2T_EEENS5_IJST_SU_SV_SW_SX_EEENS5_IJS1I_SW_SX_NSS_IJLi5ELi6ELi7EEEENSS_IJLi8ELi9ELi10EEEEEEENSS_IJLi5ELi6ELi7ELi8ELi9ELi10EEEElEEEEES30_NS_31BlockToCTileMap_M00_N00_M01_N01ILi128ELi128ES1R_Lb0EEENS1_30ComputePtrOffsetOfStridedBatchILi1ELi1ELi1EvEELb0ELb0EEEvPKT0_S38_T1_PT2_T3_T4_T5_iT6_T7_T8_T9_T10_T11_
                                        ; -- End function
	.section	.AMDGPU.csdata,"",@progbits
; Kernel info:
; codeLenInByte = 7816
; NumSgprs: 68
; NumVgprs: 90
; ScratchSize: 448
; MemoryBound: 0
; FloatMode: 240
; IeeeMode: 1
; LDSByteSize: 32768 bytes/workgroup (compile time only)
; SGPRBlocks: 8
; VGPRBlocks: 11
; NumSGPRsForWavesPerEU: 68
; NumVGPRsForWavesPerEU: 90
; Occupancy: 8
; WaveLimiterHint : 1
; COMPUTE_PGM_RSRC2:SCRATCH_EN: 1
; COMPUTE_PGM_RSRC2:USER_SGPR: 15
; COMPUTE_PGM_RSRC2:TRAP_HANDLER: 0
; COMPUTE_PGM_RSRC2:TGID_X_EN: 1
; COMPUTE_PGM_RSRC2:TGID_Y_EN: 0
; COMPUTE_PGM_RSRC2:TGID_Z_EN: 0
; COMPUTE_PGM_RSRC2:TIDIG_COMP_CNT: 0
	.section	.text._ZN2ck16tensor_operation6device12_GLOBAL__N_137kernel_grouped_conv_fwd_dl_multiple_dINS_32GridwiseGemmDlMultipleD_km_kn_mnILi256EaiNS_5TupleIJaEEEaNS0_12element_wise11PassThroughES8_NS7_7AddReluELNS_25InMemoryDataOperationEnumE0ENS_16TensorDescriptorINS5_IJNS_5EmbedINS5_IJiiiiEEESD_Lb0EEENS_11PassThroughIiEENS_3PadIiiiLb0EEESI_SG_SG_NSC_INS5_IJiiEEESJ_Lb0EEESK_SG_NS_23Merge_v2_magic_divisionINS5_IJiiiEEEEESN_NS_8RightPadIiiLb0EEESP_NS_7UnMergeISJ_Lb0EEESG_EEENS5_IJNS_8SequenceIJLi0EEEENST_IJLi1EEEENST_IJLi2EEEENST_IJLi3EEEENST_IJLi4EEEENST_IJLi5EEEENST_IJLi6EEEENST_IJLi7EEEENST_IJLi8EEEENST_IJLi9ELi11ELi13EEEENST_IJLi10ELi12ELi14EEEENST_IJLi15EEEENST_IJLi16EEEENST_IJLi18EEEENST_IJLi17EEEEEEENS5_IJNST_IJLi1ELi2ELi3ELi4EEEESZ_S10_S11_S12_NST_IJLi9EEEENST_IJLi10ELi11EEEENST_IJLi12ELi13EEEENST_IJLi14EEEES15_S16_S18_S17_NST_IJLi19ELi20EEEENST_IJLi21EEEEEEENST_IJLi19ELi21ELi20EEEElEENSB_INS5_IJSR_SP_SP_SR_SG_EEENS5_IJSU_SV_SW_SY_SX_EEENS5_IJNST_IJLi1ELi2EEEESX_SY_NST_IJLi5ELi6EEEES11_EEENST_IJLi5ELi7ELi6EEEElEENSB_INS5_IJSK_SP_SP_EEENS5_IJSU_SV_SW_EEENS5_IJS1M_SX_SY_EEENST_IJLi3ELi4EEEElEELi128ELi128ELi16ELi4ELi4ELi4ELi1ENST_IJLi8ELi2EEEES1W_NST_IJLi8ELi1ELi1ELi4EEEENST_IJLi2ELi1ELi128ELi1EEEENST_IJLi1ELi2ELi0ELi3EEEES1Z_NST_IJLi4ELi1ELi1ELi4EEEES1Z_NST_IJLi1ELi1ELi1ELi4EEEES1X_S1Y_S1Z_S1Z_S20_S1Z_S21_NST_IJLi0ELi1ELi2ELi3ELi4ELi5EEEELi5ELi4EEEaNS5_IJPKaEEEaS8_S8_S9_NSB_INS5_IJSE_SG_SI_SI_SG_SG_SK_SK_SG_SN_SN_SP_SP_SR_SG_SG_NSQ_INS5_IJiNS_17integral_constantIiLi128EEEEEELb0EEENSF_INS27_IiLi4EEEEEEEENS5_IJSU_SV_SW_SX_SY_SZ_S10_S11_S12_S13_S14_S15_S16_S17_S18_NST_IJLi19EEEES1G_NST_IJLi20EEEEEEENS5_IJS1A_SZ_S10_S11_S12_S1B_S1C_S1D_S1E_S15_S16_S18_S17_S1F_S1G_NST_IJLi22EEEENST_IJLi23ELi24EEEENST_IJLi25EEEEEEENST_IJLi22ELi23ELi24ELi25EEEElEENSB_INS5_IJSR_SP_SP_SR_SG_SG_S2A_S2C_EEENS5_IJSU_SV_SW_SY_SX_SZ_S11_S10_EEENS5_IJS1M_SX_SY_S1N_S11_S12_NST_IJLi9ELi10EEEENST_IJLi11EEEEEEENST_IJLi8ELi9ELi10ELi11EEEElEENS5_IJNSB_INS5_IJSK_SP_SP_NSQ_INS5_IJiNS27_IiLi2EEENS27_IiLi64EEEEEELb0EEES2X_EEENS5_IJSU_SV_SW_SX_SY_EEENS5_IJS1M_SX_SY_NST_IJLi5ELi6ELi7EEEENST_IJLi8ELi9ELi10EEEEEEENST_IJLi5ELi6ELi7ELi8ELi9ELi10EEEElEEEEES34_NS_31BlockToCTileMap_M00_N00_M01_N01ILi128ELi128ES1V_Lb0EEENS1_30ComputePtrOffsetOfStridedBatchILi1ELi1ELi1EvEELb1ELb1EEEvPKT0_S3C_T1_PT2_T3_T4_T5_iT6_T7_T8_T9_T10_T11_,"axG",@progbits,_ZN2ck16tensor_operation6device12_GLOBAL__N_137kernel_grouped_conv_fwd_dl_multiple_dINS_32GridwiseGemmDlMultipleD_km_kn_mnILi256EaiNS_5TupleIJaEEEaNS0_12element_wise11PassThroughES8_NS7_7AddReluELNS_25InMemoryDataOperationEnumE0ENS_16TensorDescriptorINS5_IJNS_5EmbedINS5_IJiiiiEEESD_Lb0EEENS_11PassThroughIiEENS_3PadIiiiLb0EEESI_SG_SG_NSC_INS5_IJiiEEESJ_Lb0EEESK_SG_NS_23Merge_v2_magic_divisionINS5_IJiiiEEEEESN_NS_8RightPadIiiLb0EEESP_NS_7UnMergeISJ_Lb0EEESG_EEENS5_IJNS_8SequenceIJLi0EEEENST_IJLi1EEEENST_IJLi2EEEENST_IJLi3EEEENST_IJLi4EEEENST_IJLi5EEEENST_IJLi6EEEENST_IJLi7EEEENST_IJLi8EEEENST_IJLi9ELi11ELi13EEEENST_IJLi10ELi12ELi14EEEENST_IJLi15EEEENST_IJLi16EEEENST_IJLi18EEEENST_IJLi17EEEEEEENS5_IJNST_IJLi1ELi2ELi3ELi4EEEESZ_S10_S11_S12_NST_IJLi9EEEENST_IJLi10ELi11EEEENST_IJLi12ELi13EEEENST_IJLi14EEEES15_S16_S18_S17_NST_IJLi19ELi20EEEENST_IJLi21EEEEEEENST_IJLi19ELi21ELi20EEEElEENSB_INS5_IJSR_SP_SP_SR_SG_EEENS5_IJSU_SV_SW_SY_SX_EEENS5_IJNST_IJLi1ELi2EEEESX_SY_NST_IJLi5ELi6EEEES11_EEENST_IJLi5ELi7ELi6EEEElEENSB_INS5_IJSK_SP_SP_EEENS5_IJSU_SV_SW_EEENS5_IJS1M_SX_SY_EEENST_IJLi3ELi4EEEElEELi128ELi128ELi16ELi4ELi4ELi4ELi1ENST_IJLi8ELi2EEEES1W_NST_IJLi8ELi1ELi1ELi4EEEENST_IJLi2ELi1ELi128ELi1EEEENST_IJLi1ELi2ELi0ELi3EEEES1Z_NST_IJLi4ELi1ELi1ELi4EEEES1Z_NST_IJLi1ELi1ELi1ELi4EEEES1X_S1Y_S1Z_S1Z_S20_S1Z_S21_NST_IJLi0ELi1ELi2ELi3ELi4ELi5EEEELi5ELi4EEEaNS5_IJPKaEEEaS8_S8_S9_NSB_INS5_IJSE_SG_SI_SI_SG_SG_SK_SK_SG_SN_SN_SP_SP_SR_SG_SG_NSQ_INS5_IJiNS_17integral_constantIiLi128EEEEEELb0EEENSF_INS27_IiLi4EEEEEEEENS5_IJSU_SV_SW_SX_SY_SZ_S10_S11_S12_S13_S14_S15_S16_S17_S18_NST_IJLi19EEEES1G_NST_IJLi20EEEEEEENS5_IJS1A_SZ_S10_S11_S12_S1B_S1C_S1D_S1E_S15_S16_S18_S17_S1F_S1G_NST_IJLi22EEEENST_IJLi23ELi24EEEENST_IJLi25EEEEEEENST_IJLi22ELi23ELi24ELi25EEEElEENSB_INS5_IJSR_SP_SP_SR_SG_SG_S2A_S2C_EEENS5_IJSU_SV_SW_SY_SX_SZ_S11_S10_EEENS5_IJS1M_SX_SY_S1N_S11_S12_NST_IJLi9ELi10EEEENST_IJLi11EEEEEEENST_IJLi8ELi9ELi10ELi11EEEElEENS5_IJNSB_INS5_IJSK_SP_SP_NSQ_INS5_IJiNS27_IiLi2EEENS27_IiLi64EEEEEELb0EEES2X_EEENS5_IJSU_SV_SW_SX_SY_EEENS5_IJS1M_SX_SY_NST_IJLi5ELi6ELi7EEEENST_IJLi8ELi9ELi10EEEEEEENST_IJLi5ELi6ELi7ELi8ELi9ELi10EEEElEEEEES34_NS_31BlockToCTileMap_M00_N00_M01_N01ILi128ELi128ES1V_Lb0EEENS1_30ComputePtrOffsetOfStridedBatchILi1ELi1ELi1EvEELb1ELb1EEEvPKT0_S3C_T1_PT2_T3_T4_T5_iT6_T7_T8_T9_T10_T11_,comdat
	.globl	_ZN2ck16tensor_operation6device12_GLOBAL__N_137kernel_grouped_conv_fwd_dl_multiple_dINS_32GridwiseGemmDlMultipleD_km_kn_mnILi256EaiNS_5TupleIJaEEEaNS0_12element_wise11PassThroughES8_NS7_7AddReluELNS_25InMemoryDataOperationEnumE0ENS_16TensorDescriptorINS5_IJNS_5EmbedINS5_IJiiiiEEESD_Lb0EEENS_11PassThroughIiEENS_3PadIiiiLb0EEESI_SG_SG_NSC_INS5_IJiiEEESJ_Lb0EEESK_SG_NS_23Merge_v2_magic_divisionINS5_IJiiiEEEEESN_NS_8RightPadIiiLb0EEESP_NS_7UnMergeISJ_Lb0EEESG_EEENS5_IJNS_8SequenceIJLi0EEEENST_IJLi1EEEENST_IJLi2EEEENST_IJLi3EEEENST_IJLi4EEEENST_IJLi5EEEENST_IJLi6EEEENST_IJLi7EEEENST_IJLi8EEEENST_IJLi9ELi11ELi13EEEENST_IJLi10ELi12ELi14EEEENST_IJLi15EEEENST_IJLi16EEEENST_IJLi18EEEENST_IJLi17EEEEEEENS5_IJNST_IJLi1ELi2ELi3ELi4EEEESZ_S10_S11_S12_NST_IJLi9EEEENST_IJLi10ELi11EEEENST_IJLi12ELi13EEEENST_IJLi14EEEES15_S16_S18_S17_NST_IJLi19ELi20EEEENST_IJLi21EEEEEEENST_IJLi19ELi21ELi20EEEElEENSB_INS5_IJSR_SP_SP_SR_SG_EEENS5_IJSU_SV_SW_SY_SX_EEENS5_IJNST_IJLi1ELi2EEEESX_SY_NST_IJLi5ELi6EEEES11_EEENST_IJLi5ELi7ELi6EEEElEENSB_INS5_IJSK_SP_SP_EEENS5_IJSU_SV_SW_EEENS5_IJS1M_SX_SY_EEENST_IJLi3ELi4EEEElEELi128ELi128ELi16ELi4ELi4ELi4ELi1ENST_IJLi8ELi2EEEES1W_NST_IJLi8ELi1ELi1ELi4EEEENST_IJLi2ELi1ELi128ELi1EEEENST_IJLi1ELi2ELi0ELi3EEEES1Z_NST_IJLi4ELi1ELi1ELi4EEEES1Z_NST_IJLi1ELi1ELi1ELi4EEEES1X_S1Y_S1Z_S1Z_S20_S1Z_S21_NST_IJLi0ELi1ELi2ELi3ELi4ELi5EEEELi5ELi4EEEaNS5_IJPKaEEEaS8_S8_S9_NSB_INS5_IJSE_SG_SI_SI_SG_SG_SK_SK_SG_SN_SN_SP_SP_SR_SG_SG_NSQ_INS5_IJiNS_17integral_constantIiLi128EEEEEELb0EEENSF_INS27_IiLi4EEEEEEEENS5_IJSU_SV_SW_SX_SY_SZ_S10_S11_S12_S13_S14_S15_S16_S17_S18_NST_IJLi19EEEES1G_NST_IJLi20EEEEEEENS5_IJS1A_SZ_S10_S11_S12_S1B_S1C_S1D_S1E_S15_S16_S18_S17_S1F_S1G_NST_IJLi22EEEENST_IJLi23ELi24EEEENST_IJLi25EEEEEEENST_IJLi22ELi23ELi24ELi25EEEElEENSB_INS5_IJSR_SP_SP_SR_SG_SG_S2A_S2C_EEENS5_IJSU_SV_SW_SY_SX_SZ_S11_S10_EEENS5_IJS1M_SX_SY_S1N_S11_S12_NST_IJLi9ELi10EEEENST_IJLi11EEEEEEENST_IJLi8ELi9ELi10ELi11EEEElEENS5_IJNSB_INS5_IJSK_SP_SP_NSQ_INS5_IJiNS27_IiLi2EEENS27_IiLi64EEEEEELb0EEES2X_EEENS5_IJSU_SV_SW_SX_SY_EEENS5_IJS1M_SX_SY_NST_IJLi5ELi6ELi7EEEENST_IJLi8ELi9ELi10EEEEEEENST_IJLi5ELi6ELi7ELi8ELi9ELi10EEEElEEEEES34_NS_31BlockToCTileMap_M00_N00_M01_N01ILi128ELi128ES1V_Lb0EEENS1_30ComputePtrOffsetOfStridedBatchILi1ELi1ELi1EvEELb1ELb1EEEvPKT0_S3C_T1_PT2_T3_T4_T5_iT6_T7_T8_T9_T10_T11_ ; -- Begin function _ZN2ck16tensor_operation6device12_GLOBAL__N_137kernel_grouped_conv_fwd_dl_multiple_dINS_32GridwiseGemmDlMultipleD_km_kn_mnILi256EaiNS_5TupleIJaEEEaNS0_12element_wise11PassThroughES8_NS7_7AddReluELNS_25InMemoryDataOperationEnumE0ENS_16TensorDescriptorINS5_IJNS_5EmbedINS5_IJiiiiEEESD_Lb0EEENS_11PassThroughIiEENS_3PadIiiiLb0EEESI_SG_SG_NSC_INS5_IJiiEEESJ_Lb0EEESK_SG_NS_23Merge_v2_magic_divisionINS5_IJiiiEEEEESN_NS_8RightPadIiiLb0EEESP_NS_7UnMergeISJ_Lb0EEESG_EEENS5_IJNS_8SequenceIJLi0EEEENST_IJLi1EEEENST_IJLi2EEEENST_IJLi3EEEENST_IJLi4EEEENST_IJLi5EEEENST_IJLi6EEEENST_IJLi7EEEENST_IJLi8EEEENST_IJLi9ELi11ELi13EEEENST_IJLi10ELi12ELi14EEEENST_IJLi15EEEENST_IJLi16EEEENST_IJLi18EEEENST_IJLi17EEEEEEENS5_IJNST_IJLi1ELi2ELi3ELi4EEEESZ_S10_S11_S12_NST_IJLi9EEEENST_IJLi10ELi11EEEENST_IJLi12ELi13EEEENST_IJLi14EEEES15_S16_S18_S17_NST_IJLi19ELi20EEEENST_IJLi21EEEEEEENST_IJLi19ELi21ELi20EEEElEENSB_INS5_IJSR_SP_SP_SR_SG_EEENS5_IJSU_SV_SW_SY_SX_EEENS5_IJNST_IJLi1ELi2EEEESX_SY_NST_IJLi5ELi6EEEES11_EEENST_IJLi5ELi7ELi6EEEElEENSB_INS5_IJSK_SP_SP_EEENS5_IJSU_SV_SW_EEENS5_IJS1M_SX_SY_EEENST_IJLi3ELi4EEEElEELi128ELi128ELi16ELi4ELi4ELi4ELi1ENST_IJLi8ELi2EEEES1W_NST_IJLi8ELi1ELi1ELi4EEEENST_IJLi2ELi1ELi128ELi1EEEENST_IJLi1ELi2ELi0ELi3EEEES1Z_NST_IJLi4ELi1ELi1ELi4EEEES1Z_NST_IJLi1ELi1ELi1ELi4EEEES1X_S1Y_S1Z_S1Z_S20_S1Z_S21_NST_IJLi0ELi1ELi2ELi3ELi4ELi5EEEELi5ELi4EEEaNS5_IJPKaEEEaS8_S8_S9_NSB_INS5_IJSE_SG_SI_SI_SG_SG_SK_SK_SG_SN_SN_SP_SP_SR_SG_SG_NSQ_INS5_IJiNS_17integral_constantIiLi128EEEEEELb0EEENSF_INS27_IiLi4EEEEEEEENS5_IJSU_SV_SW_SX_SY_SZ_S10_S11_S12_S13_S14_S15_S16_S17_S18_NST_IJLi19EEEES1G_NST_IJLi20EEEEEEENS5_IJS1A_SZ_S10_S11_S12_S1B_S1C_S1D_S1E_S15_S16_S18_S17_S1F_S1G_NST_IJLi22EEEENST_IJLi23ELi24EEEENST_IJLi25EEEEEEENST_IJLi22ELi23ELi24ELi25EEEElEENSB_INS5_IJSR_SP_SP_SR_SG_SG_S2A_S2C_EEENS5_IJSU_SV_SW_SY_SX_SZ_S11_S10_EEENS5_IJS1M_SX_SY_S1N_S11_S12_NST_IJLi9ELi10EEEENST_IJLi11EEEEEEENST_IJLi8ELi9ELi10ELi11EEEElEENS5_IJNSB_INS5_IJSK_SP_SP_NSQ_INS5_IJiNS27_IiLi2EEENS27_IiLi64EEEEEELb0EEES2X_EEENS5_IJSU_SV_SW_SX_SY_EEENS5_IJS1M_SX_SY_NST_IJLi5ELi6ELi7EEEENST_IJLi8ELi9ELi10EEEEEEENST_IJLi5ELi6ELi7ELi8ELi9ELi10EEEElEEEEES34_NS_31BlockToCTileMap_M00_N00_M01_N01ILi128ELi128ES1V_Lb0EEENS1_30ComputePtrOffsetOfStridedBatchILi1ELi1ELi1EvEELb1ELb1EEEvPKT0_S3C_T1_PT2_T3_T4_T5_iT6_T7_T8_T9_T10_T11_
	.p2align	8
	.type	_ZN2ck16tensor_operation6device12_GLOBAL__N_137kernel_grouped_conv_fwd_dl_multiple_dINS_32GridwiseGemmDlMultipleD_km_kn_mnILi256EaiNS_5TupleIJaEEEaNS0_12element_wise11PassThroughES8_NS7_7AddReluELNS_25InMemoryDataOperationEnumE0ENS_16TensorDescriptorINS5_IJNS_5EmbedINS5_IJiiiiEEESD_Lb0EEENS_11PassThroughIiEENS_3PadIiiiLb0EEESI_SG_SG_NSC_INS5_IJiiEEESJ_Lb0EEESK_SG_NS_23Merge_v2_magic_divisionINS5_IJiiiEEEEESN_NS_8RightPadIiiLb0EEESP_NS_7UnMergeISJ_Lb0EEESG_EEENS5_IJNS_8SequenceIJLi0EEEENST_IJLi1EEEENST_IJLi2EEEENST_IJLi3EEEENST_IJLi4EEEENST_IJLi5EEEENST_IJLi6EEEENST_IJLi7EEEENST_IJLi8EEEENST_IJLi9ELi11ELi13EEEENST_IJLi10ELi12ELi14EEEENST_IJLi15EEEENST_IJLi16EEEENST_IJLi18EEEENST_IJLi17EEEEEEENS5_IJNST_IJLi1ELi2ELi3ELi4EEEESZ_S10_S11_S12_NST_IJLi9EEEENST_IJLi10ELi11EEEENST_IJLi12ELi13EEEENST_IJLi14EEEES15_S16_S18_S17_NST_IJLi19ELi20EEEENST_IJLi21EEEEEEENST_IJLi19ELi21ELi20EEEElEENSB_INS5_IJSR_SP_SP_SR_SG_EEENS5_IJSU_SV_SW_SY_SX_EEENS5_IJNST_IJLi1ELi2EEEESX_SY_NST_IJLi5ELi6EEEES11_EEENST_IJLi5ELi7ELi6EEEElEENSB_INS5_IJSK_SP_SP_EEENS5_IJSU_SV_SW_EEENS5_IJS1M_SX_SY_EEENST_IJLi3ELi4EEEElEELi128ELi128ELi16ELi4ELi4ELi4ELi1ENST_IJLi8ELi2EEEES1W_NST_IJLi8ELi1ELi1ELi4EEEENST_IJLi2ELi1ELi128ELi1EEEENST_IJLi1ELi2ELi0ELi3EEEES1Z_NST_IJLi4ELi1ELi1ELi4EEEES1Z_NST_IJLi1ELi1ELi1ELi4EEEES1X_S1Y_S1Z_S1Z_S20_S1Z_S21_NST_IJLi0ELi1ELi2ELi3ELi4ELi5EEEELi5ELi4EEEaNS5_IJPKaEEEaS8_S8_S9_NSB_INS5_IJSE_SG_SI_SI_SG_SG_SK_SK_SG_SN_SN_SP_SP_SR_SG_SG_NSQ_INS5_IJiNS_17integral_constantIiLi128EEEEEELb0EEENSF_INS27_IiLi4EEEEEEEENS5_IJSU_SV_SW_SX_SY_SZ_S10_S11_S12_S13_S14_S15_S16_S17_S18_NST_IJLi19EEEES1G_NST_IJLi20EEEEEEENS5_IJS1A_SZ_S10_S11_S12_S1B_S1C_S1D_S1E_S15_S16_S18_S17_S1F_S1G_NST_IJLi22EEEENST_IJLi23ELi24EEEENST_IJLi25EEEEEEENST_IJLi22ELi23ELi24ELi25EEEElEENSB_INS5_IJSR_SP_SP_SR_SG_SG_S2A_S2C_EEENS5_IJSU_SV_SW_SY_SX_SZ_S11_S10_EEENS5_IJS1M_SX_SY_S1N_S11_S12_NST_IJLi9ELi10EEEENST_IJLi11EEEEEEENST_IJLi8ELi9ELi10ELi11EEEElEENS5_IJNSB_INS5_IJSK_SP_SP_NSQ_INS5_IJiNS27_IiLi2EEENS27_IiLi64EEEEEELb0EEES2X_EEENS5_IJSU_SV_SW_SX_SY_EEENS5_IJS1M_SX_SY_NST_IJLi5ELi6ELi7EEEENST_IJLi8ELi9ELi10EEEEEEENST_IJLi5ELi6ELi7ELi8ELi9ELi10EEEElEEEEES34_NS_31BlockToCTileMap_M00_N00_M01_N01ILi128ELi128ES1V_Lb0EEENS1_30ComputePtrOffsetOfStridedBatchILi1ELi1ELi1EvEELb1ELb1EEEvPKT0_S3C_T1_PT2_T3_T4_T5_iT6_T7_T8_T9_T10_T11_,@function
_ZN2ck16tensor_operation6device12_GLOBAL__N_137kernel_grouped_conv_fwd_dl_multiple_dINS_32GridwiseGemmDlMultipleD_km_kn_mnILi256EaiNS_5TupleIJaEEEaNS0_12element_wise11PassThroughES8_NS7_7AddReluELNS_25InMemoryDataOperationEnumE0ENS_16TensorDescriptorINS5_IJNS_5EmbedINS5_IJiiiiEEESD_Lb0EEENS_11PassThroughIiEENS_3PadIiiiLb0EEESI_SG_SG_NSC_INS5_IJiiEEESJ_Lb0EEESK_SG_NS_23Merge_v2_magic_divisionINS5_IJiiiEEEEESN_NS_8RightPadIiiLb0EEESP_NS_7UnMergeISJ_Lb0EEESG_EEENS5_IJNS_8SequenceIJLi0EEEENST_IJLi1EEEENST_IJLi2EEEENST_IJLi3EEEENST_IJLi4EEEENST_IJLi5EEEENST_IJLi6EEEENST_IJLi7EEEENST_IJLi8EEEENST_IJLi9ELi11ELi13EEEENST_IJLi10ELi12ELi14EEEENST_IJLi15EEEENST_IJLi16EEEENST_IJLi18EEEENST_IJLi17EEEEEEENS5_IJNST_IJLi1ELi2ELi3ELi4EEEESZ_S10_S11_S12_NST_IJLi9EEEENST_IJLi10ELi11EEEENST_IJLi12ELi13EEEENST_IJLi14EEEES15_S16_S18_S17_NST_IJLi19ELi20EEEENST_IJLi21EEEEEEENST_IJLi19ELi21ELi20EEEElEENSB_INS5_IJSR_SP_SP_SR_SG_EEENS5_IJSU_SV_SW_SY_SX_EEENS5_IJNST_IJLi1ELi2EEEESX_SY_NST_IJLi5ELi6EEEES11_EEENST_IJLi5ELi7ELi6EEEElEENSB_INS5_IJSK_SP_SP_EEENS5_IJSU_SV_SW_EEENS5_IJS1M_SX_SY_EEENST_IJLi3ELi4EEEElEELi128ELi128ELi16ELi4ELi4ELi4ELi1ENST_IJLi8ELi2EEEES1W_NST_IJLi8ELi1ELi1ELi4EEEENST_IJLi2ELi1ELi128ELi1EEEENST_IJLi1ELi2ELi0ELi3EEEES1Z_NST_IJLi4ELi1ELi1ELi4EEEES1Z_NST_IJLi1ELi1ELi1ELi4EEEES1X_S1Y_S1Z_S1Z_S20_S1Z_S21_NST_IJLi0ELi1ELi2ELi3ELi4ELi5EEEELi5ELi4EEEaNS5_IJPKaEEEaS8_S8_S9_NSB_INS5_IJSE_SG_SI_SI_SG_SG_SK_SK_SG_SN_SN_SP_SP_SR_SG_SG_NSQ_INS5_IJiNS_17integral_constantIiLi128EEEEEELb0EEENSF_INS27_IiLi4EEEEEEEENS5_IJSU_SV_SW_SX_SY_SZ_S10_S11_S12_S13_S14_S15_S16_S17_S18_NST_IJLi19EEEES1G_NST_IJLi20EEEEEEENS5_IJS1A_SZ_S10_S11_S12_S1B_S1C_S1D_S1E_S15_S16_S18_S17_S1F_S1G_NST_IJLi22EEEENST_IJLi23ELi24EEEENST_IJLi25EEEEEEENST_IJLi22ELi23ELi24ELi25EEEElEENSB_INS5_IJSR_SP_SP_SR_SG_SG_S2A_S2C_EEENS5_IJSU_SV_SW_SY_SX_SZ_S11_S10_EEENS5_IJS1M_SX_SY_S1N_S11_S12_NST_IJLi9ELi10EEEENST_IJLi11EEEEEEENST_IJLi8ELi9ELi10ELi11EEEElEENS5_IJNSB_INS5_IJSK_SP_SP_NSQ_INS5_IJiNS27_IiLi2EEENS27_IiLi64EEEEEELb0EEES2X_EEENS5_IJSU_SV_SW_SX_SY_EEENS5_IJS1M_SX_SY_NST_IJLi5ELi6ELi7EEEENST_IJLi8ELi9ELi10EEEEEEENST_IJLi5ELi6ELi7ELi8ELi9ELi10EEEElEEEEES34_NS_31BlockToCTileMap_M00_N00_M01_N01ILi128ELi128ES1V_Lb0EEENS1_30ComputePtrOffsetOfStridedBatchILi1ELi1ELi1EvEELb1ELb1EEEvPKT0_S3C_T1_PT2_T3_T4_T5_iT6_T7_T8_T9_T10_T11_: ; @_ZN2ck16tensor_operation6device12_GLOBAL__N_137kernel_grouped_conv_fwd_dl_multiple_dINS_32GridwiseGemmDlMultipleD_km_kn_mnILi256EaiNS_5TupleIJaEEEaNS0_12element_wise11PassThroughES8_NS7_7AddReluELNS_25InMemoryDataOperationEnumE0ENS_16TensorDescriptorINS5_IJNS_5EmbedINS5_IJiiiiEEESD_Lb0EEENS_11PassThroughIiEENS_3PadIiiiLb0EEESI_SG_SG_NSC_INS5_IJiiEEESJ_Lb0EEESK_SG_NS_23Merge_v2_magic_divisionINS5_IJiiiEEEEESN_NS_8RightPadIiiLb0EEESP_NS_7UnMergeISJ_Lb0EEESG_EEENS5_IJNS_8SequenceIJLi0EEEENST_IJLi1EEEENST_IJLi2EEEENST_IJLi3EEEENST_IJLi4EEEENST_IJLi5EEEENST_IJLi6EEEENST_IJLi7EEEENST_IJLi8EEEENST_IJLi9ELi11ELi13EEEENST_IJLi10ELi12ELi14EEEENST_IJLi15EEEENST_IJLi16EEEENST_IJLi18EEEENST_IJLi17EEEEEEENS5_IJNST_IJLi1ELi2ELi3ELi4EEEESZ_S10_S11_S12_NST_IJLi9EEEENST_IJLi10ELi11EEEENST_IJLi12ELi13EEEENST_IJLi14EEEES15_S16_S18_S17_NST_IJLi19ELi20EEEENST_IJLi21EEEEEEENST_IJLi19ELi21ELi20EEEElEENSB_INS5_IJSR_SP_SP_SR_SG_EEENS5_IJSU_SV_SW_SY_SX_EEENS5_IJNST_IJLi1ELi2EEEESX_SY_NST_IJLi5ELi6EEEES11_EEENST_IJLi5ELi7ELi6EEEElEENSB_INS5_IJSK_SP_SP_EEENS5_IJSU_SV_SW_EEENS5_IJS1M_SX_SY_EEENST_IJLi3ELi4EEEElEELi128ELi128ELi16ELi4ELi4ELi4ELi1ENST_IJLi8ELi2EEEES1W_NST_IJLi8ELi1ELi1ELi4EEEENST_IJLi2ELi1ELi128ELi1EEEENST_IJLi1ELi2ELi0ELi3EEEES1Z_NST_IJLi4ELi1ELi1ELi4EEEES1Z_NST_IJLi1ELi1ELi1ELi4EEEES1X_S1Y_S1Z_S1Z_S20_S1Z_S21_NST_IJLi0ELi1ELi2ELi3ELi4ELi5EEEELi5ELi4EEEaNS5_IJPKaEEEaS8_S8_S9_NSB_INS5_IJSE_SG_SI_SI_SG_SG_SK_SK_SG_SN_SN_SP_SP_SR_SG_SG_NSQ_INS5_IJiNS_17integral_constantIiLi128EEEEEELb0EEENSF_INS27_IiLi4EEEEEEEENS5_IJSU_SV_SW_SX_SY_SZ_S10_S11_S12_S13_S14_S15_S16_S17_S18_NST_IJLi19EEEES1G_NST_IJLi20EEEEEEENS5_IJS1A_SZ_S10_S11_S12_S1B_S1C_S1D_S1E_S15_S16_S18_S17_S1F_S1G_NST_IJLi22EEEENST_IJLi23ELi24EEEENST_IJLi25EEEEEEENST_IJLi22ELi23ELi24ELi25EEEElEENSB_INS5_IJSR_SP_SP_SR_SG_SG_S2A_S2C_EEENS5_IJSU_SV_SW_SY_SX_SZ_S11_S10_EEENS5_IJS1M_SX_SY_S1N_S11_S12_NST_IJLi9ELi10EEEENST_IJLi11EEEEEEENST_IJLi8ELi9ELi10ELi11EEEElEENS5_IJNSB_INS5_IJSK_SP_SP_NSQ_INS5_IJiNS27_IiLi2EEENS27_IiLi64EEEEEELb0EEES2X_EEENS5_IJSU_SV_SW_SX_SY_EEENS5_IJS1M_SX_SY_NST_IJLi5ELi6ELi7EEEENST_IJLi8ELi9ELi10EEEEEEENST_IJLi5ELi6ELi7ELi8ELi9ELi10EEEElEEEEES34_NS_31BlockToCTileMap_M00_N00_M01_N01ILi128ELi128ES1V_Lb0EEENS1_30ComputePtrOffsetOfStridedBatchILi1ELi1ELi1EvEELb1ELb1EEEvPKT0_S3C_T1_PT2_T3_T4_T5_iT6_T7_T8_T9_T10_T11_
; %bb.0:
	s_clause 0x2
	s_load_b32 s2, s[0:1], 0x24
	s_load_b128 s[36:39], s[0:1], 0x38
	s_load_b32 s4, s[0:1], 0x2c8
	s_mov_b64 s[40:41], src_shared_base
	s_mov_b32 s24, 0
	s_clause 0x1
	s_load_b128 s[8:11], s[0:1], 0x0
	s_load_b64 s[60:61], s[0:1], 0x18
	s_mov_b32 s27, s24
	s_mov_b32 s25, s24
	;; [unrolled: 1-line block ×3, first 2 shown]
	v_dual_mov_b32 v41, s27 :: v_dual_mov_b32 v38, s24
	v_dual_mov_b32 v17, s41 :: v_dual_mov_b32 v40, s26
	v_dual_mov_b32 v39, s25 :: v_dual_lshlrev_b32 v2, 3, v0
	s_clause 0x1
	s_load_b128 s[28:31], s[0:1], 0x4c
	s_load_b64 s[58:59], s[0:1], 0x5c
	v_lshrrev_b32_e32 v21, 1, v0
	v_lshrrev_b32_e32 v6, 5, v0
	s_mov_b32 s83, 0
	s_mov_b32 s84, 32
	s_waitcnt lgkmcnt(0)
	s_abs_i32 s3, s2
	s_mov_b32 s80, s24
	v_cvt_f32_u32_e32 v1, s3
	s_sub_i32 s6, 0, s3
	s_abs_i32 s7, s4
	s_xor_b32 s2, s4, s2
	s_mov_b32 s87, s24
	v_rcp_iflag_f32_e32 v1, v1
	s_movk_i32 s32, 0x1e0
	v_mov_b32_e32 v34, 0
	v_and_b32_e32 v22, 8, v2
	s_delay_alu instid0(VALU_DEP_2)
	v_dual_mov_b32 v3, v34 :: v_dual_lshlrev_b32 v2, 6, v6
	v_mov_b32_e32 v16, v34
	v_mov_b32_e32 v11, v34
	s_waitcnt_depctr 0xfff
	v_mul_f32_e32 v1, 0x4f7ffffe, v1
	v_mov_b32_e32 v15, v34
	s_delay_alu instid0(VALU_DEP_2) | instskip(NEXT) | instid1(VALU_DEP_1)
	v_cvt_u32_f32_e32 v1, v1
	v_readfirstlane_b32 s5, v1
	s_delay_alu instid0(VALU_DEP_1) | instskip(NEXT) | instid1(SALU_CYCLE_1)
	s_mul_i32 s6, s6, s5
	s_mul_hi_u32 s6, s5, s6
	s_delay_alu instid0(SALU_CYCLE_1) | instskip(SKIP_2) | instid1(SALU_CYCLE_1)
	s_add_i32 s5, s5, s6
	s_ashr_i32 s6, s2, 31
	s_mul_hi_u32 s5, s7, s5
	s_mul_i32 s4, s5, s3
	s_delay_alu instid0(SALU_CYCLE_1)
	s_sub_i32 s2, s7, s4
	s_add_i32 s4, s5, 1
	s_sub_i32 s7, s2, s3
	s_cmp_ge_u32 s2, s3
	s_cselect_b32 s4, s4, s5
	s_cselect_b32 s2, s7, s2
	s_add_i32 s5, s4, 1
	s_cmp_ge_u32 s2, s3
	s_clause 0x3
	s_load_b64 s[64:65], s[0:1], 0x74
	s_load_b64 s[62:63], s[0:1], 0x84
	;; [unrolled: 1-line block ×4, first 2 shown]
	s_cselect_b32 s4, s5, s4
	s_abs_i32 s27, s15
	s_xor_b32 s4, s4, s6
	s_clause 0x3
	s_load_b64 s[12:13], s[0:1], 0xac
	s_load_b64 s[66:67], s[0:1], 0xbc
	;; [unrolled: 1-line block ×4, first 2 shown]
	s_sub_i32 s33, s4, s6
	s_clause 0x5
	s_load_b32 s90, s[0:1], 0x100
	s_load_b32 s88, s[0:1], 0x10c
	;; [unrolled: 1-line block ×6, first 2 shown]
	s_abs_i32 s40, s33
	s_clause 0x4
	s_load_b32 s75, s[0:1], 0x160
	s_load_b32 s46, s[0:1], 0x188
	s_load_b64 s[56:57], s[0:1], 0x198
	s_load_b32 s72, s[0:1], 0x1a4
	s_load_b32 s73, s[0:1], 0x1b0
	v_cvt_f32_u32_e32 v1, s40
	s_sub_i32 s26, 0, s40
	s_clause 0x5
	s_load_b32 s43, s[0:1], 0x244
	s_load_b32 s47, s[0:1], 0x254
	s_load_b128 s[4:7], s[0:1], 0x260
	s_load_b128 s[52:55], s[0:1], 0x274
	;; [unrolled: 1-line block ×3, first 2 shown]
	s_load_b256 s[16:23], s[0:1], 0x2a0
	s_clause 0x1
	scratch_store_b128 off, v[38:41], off offset:144
	scratch_store_b128 off, v[38:41], off offset:160
	v_rcp_iflag_f32_e32 v1, v1
	v_lshlrev_b32_e32 v8, 1, v0
	s_clause 0x9
	scratch_store_b128 off, v[38:41], off offset:176
	scratch_store_b128 off, v[38:41], off offset:192
	;; [unrolled: 1-line block ×10, first 2 shown]
	s_waitcnt lgkmcnt(0)
	v_mul_lo_u32 v23, s90, v22
	s_clause 0x2
	scratch_store_b128 off, v[38:41], off offset:336
	scratch_store_b128 off, v[38:41], off offset:352
	scratch_store_b64 off, v[16:17], off offset:400
	v_mul_f32_e32 v5, 0x4f7ffffe, v1
	v_mov_b32_e32 v7, v34
	v_dual_mov_b32 v9, v34 :: v_dual_mov_b32 v16, 0x4000
	v_dual_mov_b32 v1, v34 :: v_dual_lshlrev_b32 v0, 2, v0
	s_delay_alu instid0(VALU_DEP_4)
	v_cvt_u32_f32_e32 v10, v5
	v_mul_hi_u32 v14, v23, s71
	v_mov_b32_e32 v13, v34
	v_mov_b32_e32 v5, v34
	scratch_store_b64 off, v[16:17], off offset:416
	v_readfirstlane_b32 s25, v10
	v_and_b32_e32 v10, 0x1f8, v8
	v_and_b32_e32 v8, 0x1fc, v8
	v_mov_b32_e32 v16, 0x2000
	v_add_nc_u32_e32 v14, v23, v14
	s_mul_i32 s26, s26, s25
	v_sub_nc_u32_e32 v2, v10, v2
	s_mul_hi_u32 s26, s25, s26
	v_sub_nc_u32_e32 v8, v8, v10
	s_add_i32 s25, s25, s26
	s_xor_b32 s26, s15, s33
	s_mul_hi_u32 s25, s27, s25
	s_ashr_i32 s26, s26, 31
	s_mul_i32 s33, s25, s40
	v_lshrrev_b32_e32 v18, s69, v14
	s_sub_i32 s27, s27, s33
	s_add_i32 s33, s25, 1
	s_sub_i32 s41, s27, s40
	s_cmp_ge_u32 s27, s40
	v_mul_hi_u32 v10, v18, s70
	s_cselect_b32 s25, s33, s25
	s_cselect_b32 s27, s41, s27
	s_add_i32 s33, s25, 1
	s_cmp_ge_u32 s27, s40
	v_lshl_add_u32 v35, v6, 3, v8
	s_cselect_b32 s25, s33, s25
	s_clause 0x1
	scratch_store_b128 off, v[38:41], off offset:368
	scratch_store_b128 off, v[38:41], off offset:384
	s_xor_b32 s25, s25, s26
	v_add_nc_u32_e32 v8, v18, v10
	s_sub_i32 s25, s25, s26
	s_mul_hi_u32 s26, s55, s15
	s_ashr_i32 s55, s25, 31
	s_mul_hi_u32 s27, s16, s25
	s_mul_i32 s33, s16, s25
	s_mul_hi_u32 s40, s18, s25
	s_mul_i32 s44, s18, s25
	;; [unrolled: 2-line block ×3, first 2 shown]
	s_mul_i32 s18, s18, s55
	s_mul_i32 s45, s22, s55
	;; [unrolled: 1-line block ×5, first 2 shown]
	s_add_i32 s16, s27, s16
	s_add_i32 s18, s40, s18
	;; [unrolled: 1-line block ×6, first 2 shown]
	s_add_u32 s40, s8, s33
	s_addc_u32 s41, s9, s16
	s_add_u32 s44, s10, s44
	s_addc_u32 s45, s11, s18
	s_add_i32 s8, s15, s26
	scratch_store_b64 off, v[16:17], off offset:432
	s_lshr_b32 s8, s8, s51
	s_lshl_b32 s16, s90, 2
	s_mul_hi_u32 s9, s8, s54
	v_add_nc_u32_e32 v44, s16, v23
	s_add_i32 s9, s8, s9
	v_lshrrev_b32_e32 v26, s68, v8
	s_lshr_b32 s9, s9, s50
	v_and_or_b32 v37, v0, 4, v2
	s_mul_hi_u32 s10, s9, s53
	v_mul_hi_u32 v27, v44, s71
	s_add_i32 s10, s9, s10
	v_mov_b32_e32 v36, v34
	s_lshr_b32 s10, s10, s49
	v_lshlrev_b32_e32 v0, 2, v35
	s_mul_hi_u32 s11, s10, s52
	v_mov_b32_e32 v2, v35
	s_add_i32 s11, s10, s11
	v_mul_lo_u32 v19, v26, s66
	s_lshr_b32 s11, s11, s48
	s_clause 0x1
	scratch_store_b128 off, v[34:37], off offset:64
	scratch_store_b128 off, v[0:3], off offset:80
	s_mul_i32 s11, s11, s4
	s_mul_i32 s4, s9, s6
	s_sub_i32 s6, s10, s11
	s_sub_i32 s48, s8, s4
	s_mul_i32 s6, s6, s43
	v_mul_lo_u32 v1, v18, s67
	s_add_i32 s48, s48, s6
	v_add_nc_u32_e32 v3, v44, v27
	v_lshl_or_b32 v24, s48, 7, v21
	v_sub_nc_u32_e32 v2, v18, v19
	v_mov_b32_e32 v6, v35
	v_lshlrev_b32_e32 v8, 2, v37
	v_lshrrev_b32_e32 v3, s69, v3
	v_mul_hi_u32 v14, v24, s35
	v_sub_nc_u32_e32 v29, v23, v1
	v_mul_lo_u32 v1, v26, s64
	s_mul_i32 s10, s10, s5
	s_mul_i32 s8, s8, s7
	s_sub_i32 s4, s9, s10
	s_sub_i32 s49, s15, s8
	s_mul_i32 s4, s4, s47
	v_add_nc_u32_e32 v10, v24, v14
	s_add_i32 s49, s49, s4
	v_mov_b32_e32 v14, v37
	v_lshl_or_b32 v28, s49, 7, v21
	v_mul_lo_u32 v25, s75, v22
	v_lshrrev_b32_e32 v16, s13, v10
	v_mov_b32_e32 v10, v37
	s_mov_b32 s43, 0x31004000
	v_mul_lo_u32 v45, v28, s14
	s_mov_b32 s47, s43
	v_mul_hi_u32 v20, v16, s34
	v_mul_lo_u32 v18, v16, s3
	s_lshl_b32 s78, s75, 2
	s_sub_i32 s59, s31, s59
	s_sub_i32 s28, s28, s30
	v_add_nc_u32_e32 v46, s78, v25
	s_mov_b64 s[14:15], src_private_base
	s_mov_b32 s51, 64
	v_add_nc_u32_e32 v0, v16, v20
	v_mul_hi_u32 v20, v3, s70
	v_sub_nc_u32_e32 v30, v24, v18
	v_mov_b32_e32 v4, v34
	s_movk_i32 s52, 0x1b0
	v_lshrrev_b32_e32 v27, s12, v0
	v_mul_lo_u32 v0, v2, s62
	s_movk_i32 s50, 0x1c0
	s_mov_b32 s77, s15
	v_add_nc_u32_e32 v31, v3, v20
	v_mul_lo_u32 v19, v27, s2
	s_clause 0x1
	scratch_store_b128 off, v[4:7], off offset:96
	scratch_store_b128 off, v[8:11], off offset:112
	v_mul_lo_u32 v9, v27, s36
	v_add_nc_u32_e32 v6, v45, v25
	v_lshrrev_b32_e32 v60, s68, v31
	s_mov_b32 s76, s15
	s_mov_b32 s54, s15
	;; [unrolled: 1-line block ×3, first 2 shown]
	v_sub_nc_u32_e32 v16, v16, v19
	v_mad_u64_u32 v[18:19], null, v30, s63, v[0:1]
	v_mul_lo_u32 v0, v29, s39
	v_mul_lo_u32 v8, v60, s66
	s_delay_alu instid0(VALU_DEP_4)
	v_mad_u64_u32 v[19:20], null, v16, s65, v[1:2]
	v_mov_b32_e32 v12, v34
	v_mov_b32_e32 v16, 0x6000
	v_subrev_nc_u32_e32 v1, s58, v18
	v_cmp_le_i32_e32 vcc_lo, s58, v18
	v_cmp_gt_i32_e64 s2, s59, v18
	v_sub_nc_u32_e32 v61, v3, v8
	v_subrev_nc_u32_e32 v7, s29, v19
	v_mad_u64_u32 v[4:5], null, v1, s38, v[0:1]
	v_mul_lo_u32 v0, v3, s67
	v_sub_nc_u32_e32 v8, v60, v26
	s_delay_alu instid0(VALU_DEP_4)
	v_mul_lo_u32 v5, v7, s37
	v_sub_nc_u32_e32 v7, v61, v2
	s_clause 0x5
	scratch_store_b128 off, v[12:15], off offset:128
	scratch_store_b8 off, v34, off offset:409
	scratch_store_b8 off, v34, off offset:425
	;; [unrolled: 1-line block ×3, first 2 shown]
	scratch_store_b64 off, v[16:17], off offset:448
	scratch_store_b8 off, v34, off offset:457
	v_mul_lo_u32 v17, v8, s64
	v_sub_nc_u32_e32 v64, v44, v0
	v_mul_lo_u32 v16, v7, s62
	buffer_load_b128 v[0:3], v6, s[44:47], 0 offen
	v_add3_u32 v14, v4, v9, v5
	v_add_nc_u32_e32 v6, s78, v6
	v_sub_nc_u32_e32 v10, v64, v29
	s_and_b32 s2, vcc_lo, s2
	v_add_nc_u32_e32 v63, v19, v17
	v_lshlrev_b32_e32 v20, 2, v21
	v_mul_lo_u32 v15, v16, s38
	v_mul_lo_u32 v8, v10, s39
	buffer_load_b128 v[4:7], v6, s[44:47], 0 offen
	v_add_nc_u32_e32 v62, v18, v16
	v_or_b32_e32 v16, 36, v22
	v_or_b32_e32 v18, 20, v22
	v_lshl_or_b32 v36, v22, 9, v20
	s_movk_i32 s65, 0x190
	v_cmp_le_i32_e64 s4, s58, v62
	v_mad_u64_u32 v[12:13], null, v17, s37, v[8:9]
	buffer_load_b128 v[8:11], v14, s[40:43], 0 offen
	v_cmp_gt_i32_e64 s5, s59, v62
	v_or_b32_e32 v17, 32, v22
	v_mul_lo_u32 v50, s90, v16
	v_mul_lo_u32 v53, s90, v18
	;; [unrolled: 1-line block ×3, first 2 shown]
	v_add3_u32 v34, v12, v15, v14
	s_and_b32 s4, s4, s5
	v_mul_lo_u32 v54, s90, v17
	v_mul_lo_u32 v48, s75, v17
	;; [unrolled: 1-line block ×3, first 2 shown]
	buffer_load_b128 v[12:15], v34, s[40:43], 0 offen
	s_clause 0x6
	s_load_b32 s6, s[0:1], 0xe4
	s_load_b32 s79, s[0:1], 0xf0
	s_load_b64 s[18:19], s[0:1], 0x228
	s_load_b64 s[26:27], s[0:1], 0x1d8
	;; [unrolled: 1-line block ×3, first 2 shown]
	s_load_b32 s33, s[0:1], 0x1f4
	s_load_b32 s36, s[0:1], 0x200
	v_mov_b32_e32 v55, v50
	v_dual_mov_b32 v57, v53 :: v_dual_mov_b32 v56, v54
	s_waitcnt lgkmcnt(0)
	s_movk_i32 s19, 0x90
	s_movk_i32 s63, 0x1a0
	s_mov_b32 s27, s15
	s_mov_b32 s85, s15
	;; [unrolled: 1-line block ×4, first 2 shown]
	s_mul_i32 s82, s90, 12
	s_mul_i32 s71, s22, s25
	s_sub_i32 s88, s88, 32
	s_sub_i32 s91, 0, s67
	v_cmp_gt_i32_e64 s3, s79, v23
	v_cmp_gt_i32_e32 vcc_lo, s79, v44
	s_delay_alu instid0(VALU_DEP_2)
	s_and_b32 s7, s3, s2
	v_cmp_le_i32_e64 s2, s29, v19
	v_cmp_gt_i32_e64 s3, s28, v19
	s_and_b32 s4, vcc_lo, s4
	v_cmp_le_i32_e32 vcc_lo, s29, v63
	v_or_b32_e32 v19, 16, v22
	s_delay_alu instid0(VALU_DEP_3)
	s_and_b32 s3, s2, s3
	v_cmp_gt_i32_e64 s2, s28, v63
	s_and_b32 s5, s7, s3
	v_cmp_gt_i32_e64 s3, s6, v24
	v_mul_lo_u32 v52, s90, v19
	v_mul_lo_u32 v51, s75, v19
	s_and_b32 s2, vcc_lo, s2
	v_cmp_gt_i32_e32 vcc_lo, s74, v25
	s_and_b32 s4, s4, s2
	v_cmp_gt_i32_e64 s2, s89, v28
	s_lshl_b32 s89, s75, 5
	s_lshl_b32 s90, s90, 5
	v_mov_b32_e32 v58, v52
	s_delay_alu instid0(VALU_DEP_2) | instskip(SKIP_4) | instid1(VALU_DEP_3)
	s_and_b32 vcc_lo, vcc_lo, s2
	s_waitcnt vmcnt(3)
	v_dual_cndmask_b32 v3, 0, v3 :: v_dual_cndmask_b32 v2, 0, v2
	v_dual_cndmask_b32 v1, 0, v1 :: v_dual_cndmask_b32 v0, 0, v0
	v_cmp_gt_i32_e32 vcc_lo, s74, v46
	v_perm_b32 v2, v2, v2, 0x3020104
	s_delay_alu instid0(VALU_DEP_3)
	v_perm_b32 v0, v0, v0, 0x3020104
	s_and_b32 vcc_lo, vcc_lo, s2
	ds_store_2addr_stride64_b32 v36, v0, v1 offset0:64 offset1:66
	ds_store_2addr_stride64_b32 v36, v2, v3 offset0:68 offset1:70
	s_waitcnt vmcnt(2)
	v_dual_cndmask_b32 v7, 0, v7 :: v_dual_cndmask_b32 v6, 0, v6
	v_dual_cndmask_b32 v5, 0, v5 :: v_dual_cndmask_b32 v4, 0, v4
	s_and_b32 vcc_lo, s3, s5
	s_waitcnt vmcnt(1)
	v_dual_cndmask_b32 v11, 0, v11 :: v_dual_cndmask_b32 v10, 0, v10
	v_dual_cndmask_b32 v9, 0, v9 :: v_dual_cndmask_b32 v8, 0, v8
	s_and_b32 vcc_lo, s3, s4
	v_mov_b32_e32 v59, v44
	v_perm_b32 v0, v4, v4, 0x3020104
	v_perm_b32 v3, v10, v10, 0x3020104
	;; [unrolled: 1-line block ×3, first 2 shown]
	s_waitcnt vmcnt(0)
	v_cndmask_b32_e32 v12, 0, v12, vcc_lo
	v_dual_cndmask_b32 v14, 0, v14 :: v_dual_cndmask_b32 v13, 0, v13
	v_cndmask_b32_e32 v15, 0, v15, vcc_lo
	v_perm_b32 v1, v6, v6, 0x3020104
	s_delay_alu instid0(VALU_DEP_4) | instskip(NEXT) | instid1(VALU_DEP_4)
	v_perm_b32 v4, v12, v12, 0x3020104
	v_perm_b32 v6, v14, v14, 0x3020104
	ds_store_2addr_stride64_b32 v36, v0, v5 offset0:72 offset1:74
	ds_store_2addr_stride64_b32 v36, v2, v9 offset1:2
	ds_store_2addr_stride64_b32 v36, v3, v11 offset0:4 offset1:6
	ds_store_2addr_stride64_b32 v36, v4, v13 offset0:8 offset1:10
	ds_store_2addr_stride64_b32 v36, v6, v15 offset0:12 offset1:14
	ds_store_2addr_stride64_b32 v36, v1, v7 offset0:76 offset1:78
.LBB6_1:                                ; =>This Inner Loop Header: Depth=1
	v_mul_hi_u32 v0, s81, v58
	v_add_nc_u32_e32 v98, s24, v52
	v_mul_hi_u32 v1, s81, v57
	v_add_nc_u32_e32 v32, s24, v53
	v_add_nc_u32_e32 v102, s80, v49
	s_getpc_b64 s[22:23]
	s_add_u32 s22, s22, _ZNK2ck6detail15static_for_implINS_8SequenceIJLi1ELi2ELi3ELi4ELi5ELi6ELi7ELi8ELi9ELi10ELi11ELi12ELi13ELi14ELi15EEEEEclIZNKS_80BlockwiseGemmDl_A_BK0_BM_BK1_B_BK0_BN_BK1_C_BM0_BM1_BN0_BN1_pipeline_BM0_2_BN0_2ILi256EaaiKNS_16TensorDescriptorINS_5TupleIJNS_5EmbedINS8_IJNS_17integral_constantIiLi16EEENSA_IiLi128EEENSA_IiLi4EEEEEENS8_IJNSA_IiLi512EEESD_NSA_IiLi1EEEEEELb0EEEEEENS8_IJNS2_IJLi0EEEEEEENS8_IJNS2_IJLi1ELi2ELi3EEEEEEESM_NSA_IlLl8192EEEEESQ_Li4ELi4ELi1ENS2_IJLi8ELi2EEEESR_Li4ELi4ELb0EE3RunINS7_INS8_IJNS_7UnMergeINS8_IJNSA_IiLi2EEESD_SV_SD_EEELb0EEEEEESL_NS8_IJNS2_IJLi1ELi2ELi3ELi4EEEEEEESZ_NSA_IlLl64EEEEENS_13DynamicBufferILNS_16AddressSpaceEnumE2EaSO_Lb1ELNS_22AmdBufferCoherenceEnumE0EiEES16_NS_12StaticBufferILS14_4EiLi64ELb1EEEEEvRKT_RKT0_RKT1_RT2_EUlS19_E_EEvS19_@rel32@lo+4
	s_addc_u32 s23, s23, _ZNK2ck6detail15static_for_implINS_8SequenceIJLi1ELi2ELi3ELi4ELi5ELi6ELi7ELi8ELi9ELi10ELi11ELi12ELi13ELi14ELi15EEEEEclIZNKS_80BlockwiseGemmDl_A_BK0_BM_BK1_B_BK0_BN_BK1_C_BM0_BM1_BN0_BN1_pipeline_BM0_2_BN0_2ILi256EaaiKNS_16TensorDescriptorINS_5TupleIJNS_5EmbedINS8_IJNS_17integral_constantIiLi16EEENSA_IiLi128EEENSA_IiLi4EEEEEENS8_IJNSA_IiLi512EEESD_NSA_IiLi1EEEEEELb0EEEEEENS8_IJNS2_IJLi0EEEEEEENS8_IJNS2_IJLi1ELi2ELi3EEEEEEESM_NSA_IlLl8192EEEEESQ_Li4ELi4ELi1ENS2_IJLi8ELi2EEEESR_Li4ELi4ELb0EE3RunINS7_INS8_IJNS_7UnMergeINS8_IJNSA_IiLi2EEESD_SV_SD_EEELb0EEEEEESL_NS8_IJNS2_IJLi1ELi2ELi3ELi4EEEEEEESZ_NSA_IlLl64EEEEENS_13DynamicBufferILNS_16AddressSpaceEnumE2EaSO_Lb1ELNS_22AmdBufferCoherenceEnumE0EiEES16_NS_12StaticBufferILS14_4EiLi64ELb1EEEEEvRKT_RKT0_RKT1_RT2_EUlS19_E_EEvS19_@rel32@hi+12
	v_mul_hi_u32 v101, s81, v55
	v_cmp_gt_i32_e64 s4, s79, v32
	v_add_nc_u32_e32 v0, v98, v0
	v_add_nc_u32_e32 v1, v32, v1
	v_cmp_gt_i32_e64 s14, s74, v102
	s_delay_alu instid0(VALU_DEP_3) | instskip(NEXT) | instid1(VALU_DEP_3)
	v_lshrrev_b32_e32 v0, s69, v0
	v_lshrrev_b32_e32 v1, s69, v1
	s_delay_alu instid0(VALU_DEP_2) | instskip(NEXT) | instid1(VALU_DEP_2)
	v_mul_hi_u32 v2, v0, s70
	v_mul_hi_u32 v3, v1, s70
	v_mul_lo_u32 v4, s91, v0
	v_mad_u64_u32 v[42:43], null, s91, v1, v[32:33]
	s_delay_alu instid0(VALU_DEP_4) | instskip(NEXT) | instid1(VALU_DEP_4)
	v_add_nc_u32_e32 v2, v0, v2
	v_add_nc_u32_e32 v3, v1, v3
	s_delay_alu instid0(VALU_DEP_2) | instskip(NEXT) | instid1(VALU_DEP_2)
	v_lshrrev_b32_e32 v2, s68, v2
	v_lshrrev_b32_e32 v65, s68, v3
	s_delay_alu instid0(VALU_DEP_2) | instskip(NEXT) | instid1(VALU_DEP_2)
	v_mul_lo_u32 v3, v2, s66
	v_mul_lo_u32 v5, v65, s66
	v_sub_nc_u32_e32 v6, v2, v60
	v_sub_nc_u32_e32 v2, v65, v2
	s_delay_alu instid0(VALU_DEP_2) | instskip(SKIP_4) | instid1(VALU_DEP_4)
	v_mul_lo_u32 v43, v6, s64
	v_sub_nc_u32_e32 v0, v0, v3
	v_add_nc_u32_e32 v3, v98, v4
	v_sub_nc_u32_e32 v4, v4, v64
	v_sub_nc_u32_e32 v64, v1, v5
	;; [unrolled: 1-line block ×3, first 2 shown]
	s_delay_alu instid0(VALU_DEP_4) | instskip(NEXT) | instid1(VALU_DEP_4)
	v_sub_nc_u32_e32 v3, v42, v3
	v_add_nc_u32_e32 v4, v98, v4
	s_delay_alu instid0(VALU_DEP_4)
	v_sub_nc_u32_e32 v5, v64, v0
	v_mul_lo_u32 v61, v2, s64
	v_mul_lo_u32 v60, v1, s62
	v_mul_lo_u32 v0, v3, s39
	v_mad_u64_u32 v[1:2], null, v4, s39, v[34:35]
	v_mul_lo_u32 v99, v5, s62
	v_mul_lo_u32 v4, v43, s37
	v_mul_lo_u32 v5, v60, s38
	s_delay_alu instid0(VALU_DEP_4) | instskip(NEXT) | instid1(VALU_DEP_4)
	v_mad_u64_u32 v[2:3], null, v61, s37, v[0:1]
	v_mul_lo_u32 v0, v99, s38
	s_delay_alu instid0(VALU_DEP_3) | instskip(SKIP_2) | instid1(VALU_DEP_3)
	v_add3_u32 v8, v1, v4, v5
	v_add_nc_u32_e32 v1, v51, v45
	v_add_nc_u32_e32 v4, v49, v45
	v_add3_u32 v100, v2, v8, v0
	s_clause 0x1
	buffer_load_b128 v[0:3], v1, s[44:47], 0 offen
	buffer_load_b128 v[4:7], v4, s[44:47], 0 offen
	s_clause 0x1
	buffer_load_b128 v[8:11], v8, s[40:43], 0 offen
	buffer_load_b128 v[12:15], v100, s[40:43], 0 offen
	s_waitcnt vmcnt(0) lgkmcnt(0)
	s_waitcnt_vscnt null, 0x0
	s_barrier
	s_clause 0x3
	scratch_load_b32 v18, off, off offset:80
	scratch_load_b64 v[16:17], off, off offset:400
	scratch_load_b32 v22, off, off offset:112
	scratch_load_b64 v[20:21], off, off offset:416
	s_clause 0x3
	scratch_store_b128 off, v[38:41], off
	scratch_store_b128 off, v[38:41], off offset:16
	scratch_store_b128 off, v[38:41], off offset:32
	;; [unrolled: 1-line block ×3, first 2 shown]
	v_add_nc_u32_e32 v43, v43, v63
	v_add_nc_u32_e32 v32, v60, v62
	s_delay_alu instid0(VALU_DEP_2) | instskip(NEXT) | instid1(VALU_DEP_2)
	v_add_nc_u32_e32 v63, v61, v43
	v_add_nc_u32_e32 v62, v99, v32
	v_cmp_le_i32_e64 s6, s29, v43
	v_cmp_gt_i32_e64 s7, s28, v43
	v_cmp_le_i32_e64 s10, s58, v32
	v_cmp_le_i32_e64 s8, s29, v63
	v_cmp_gt_i32_e64 s9, s28, v63
	v_cmp_gt_i32_e64 s11, s59, v32
	v_cmp_le_i32_e64 s12, s58, v62
	v_cmp_gt_i32_e64 s13, s59, v62
	s_and_b32 s6, s6, s7
	s_and_b32 s7, s8, s9
	;; [unrolled: 1-line block ×3, first 2 shown]
	s_delay_alu instid0(VALU_DEP_1) | instskip(NEXT) | instid1(SALU_CYCLE_1)
	s_and_b32 s9, s12, s13
	s_and_b32 s4, s4, s9
	s_delay_alu instid0(SALU_CYCLE_1)
	s_and_b32 s4, s7, s4
	s_waitcnt vmcnt(3)
	v_ashrrev_i32_e32 v19, 31, v18
	s_waitcnt vmcnt(2)
	v_add_co_u32 v33, vcc_lo, v16, v18
	s_waitcnt vmcnt(1)
	v_ashrrev_i32_e32 v23, 31, v22
	v_add_co_ci_u32_e32 v34, vcc_lo, v17, v19, vcc_lo
	s_waitcnt vmcnt(0)
	v_add_co_u32 v24, vcc_lo, v20, v22
	s_delay_alu instid0(VALU_DEP_3) | instskip(SKIP_3) | instid1(SALU_CYCLE_1)
	v_add_co_ci_u32_e32 v25, vcc_lo, v21, v23, vcc_lo
	flat_load_b128 v[16:19], v[33:34]
	v_cmp_gt_i32_e32 vcc_lo, s79, v98
	s_and_b32 s8, vcc_lo, s8
	s_and_b32 s6, s6, s8
	s_waitcnt vmcnt(0) lgkmcnt(0)
	scratch_store_b128 off, v[16:19], off
	flat_load_b128 v[20:23], v[24:25]
	s_waitcnt vmcnt(0) lgkmcnt(0)
	scratch_store_b128 off, v[20:23], off offset:32
	flat_load_b128 v[24:27], v[24:25] offset:256
	s_clause 0x7
	scratch_load_b128 v[28:31], off, off offset:144
	scratch_load_b128 v[66:69], off, off offset:176
	;; [unrolled: 1-line block ×8, first 2 shown]
	s_waitcnt vmcnt(8) lgkmcnt(0)
	scratch_store_b128 off, v[24:27], off offset:48
	flat_load_b128 v[94:97], v[33:34] offset:256
	v_add_nc_u32_e32 v33, s80, v51
	v_mul_hi_u32 v34, s81, v56
	s_delay_alu instid0(VALU_DEP_2) | instskip(NEXT) | instid1(VALU_DEP_1)
	v_cmp_gt_i32_e64 s5, s74, v33
	s_and_b32 vcc_lo, s2, s5
	v_dual_cndmask_b32 v98, 0, v3 :: v_dual_cndmask_b32 v99, 0, v2
	v_dual_cndmask_b32 v102, 0, v1 :: v_dual_cndmask_b32 v103, 0, v0
	s_and_b32 vcc_lo, s2, s14
	s_waitcnt vmcnt(8)
	v_dot4_i32_iu8 v0, v16, v20, v28 neg_lo:[1,1,0]
	v_cndmask_b32_e32 v106, 0, v5, vcc_lo
	v_dual_cndmask_b32 v104, 0, v7 :: v_dual_cndmask_b32 v105, 0, v6
	v_cndmask_b32_e32 v107, 0, v4, vcc_lo
	s_and_b32 vcc_lo, s3, s6
	v_dot4_i32_iu8 v1, v16, v21, v29 neg_lo:[1,1,0]
	v_dual_cndmask_b32 v43, 0, v11 :: v_dual_cndmask_b32 v60, 0, v10
	v_dual_cndmask_b32 v61, 0, v9 :: v_dual_cndmask_b32 v108, 0, v8
	s_and_b32 vcc_lo, s3, s4
	v_dot4_i32_iu8 v2, v16, v22, v30 neg_lo:[1,1,0]
	v_dot4_i32_iu8 v3, v16, v23, v31 neg_lo:[1,1,0]
	v_dual_cndmask_b32 v109, 0, v15 :: v_dual_cndmask_b32 v110, 0, v14
	v_dual_cndmask_b32 v111, 0, v13 :: v_dual_cndmask_b32 v112, 0, v12
	s_waitcnt vmcnt(7)
	v_dot4_i32_iu8 v4, v17, v20, v66 neg_lo:[1,1,0]
	v_dot4_i32_iu8 v5, v17, v21, v67 neg_lo:[1,1,0]
	v_dot4_i32_iu8 v6, v17, v22, v68 neg_lo:[1,1,0]
	v_dot4_i32_iu8 v7, v17, v23, v69 neg_lo:[1,1,0]
	s_waitcnt vmcnt(6)
	v_dot4_i32_iu8 v8, v18, v20, v70 neg_lo:[1,1,0]
	v_dot4_i32_iu8 v9, v18, v21, v71 neg_lo:[1,1,0]
	v_dot4_i32_iu8 v10, v18, v22, v72 neg_lo:[1,1,0]
	v_dot4_i32_iu8 v11, v18, v23, v73 neg_lo:[1,1,0]
	;; [unrolled: 5-line block ×7, first 2 shown]
	s_clause 0x7
	scratch_store_b128 off, v[0:3], off offset:144
	scratch_store_b128 off, v[20:23], off offset:160
	;; [unrolled: 1-line block ×8, first 2 shown]
	s_waitcnt vmcnt(0) lgkmcnt(0)
	scratch_store_b128 off, v[94:97], off offset:16
	v_dual_mov_b32 v3, s77 :: v_dual_mov_b32 v0, s51
	v_mov_b32_e32 v5, s85
	v_dual_mov_b32 v1, s15 :: v_dual_mov_b32 v2, s65
	v_dual_mov_b32 v7, s86 :: v_dual_mov_b32 v4, s83
	;; [unrolled: 1-line block ×4, first 2 shown]
	v_mov_b32_e32 v10, s63
	s_swappc_b64 s[30:31], s[22:23]
	s_clause 0xe
	scratch_load_b32 v78, off, off offset:16
	scratch_load_b32 v79, off, off offset:32
	scratch_load_b128 v[0:3], off, off offset:272
	scratch_load_b128 v[4:7], off, off offset:32
	;; [unrolled: 1-line block ×6, first 2 shown]
	scratch_load_b32 v8, off, off offset:48
	scratch_load_b128 v[24:27], off, off offset:288
	scratch_load_b128 v[28:31], off, off offset:48
	;; [unrolled: 1-line block ×5, first 2 shown]
	scratch_load_b64 v[32:33], off, off offset:432
	v_perm_b32 v80, v108, v108, 0x3020104
	v_perm_b32 v60, v60, v60, 0x3020104
	;; [unrolled: 1-line block ×4, first 2 shown]
	v_add_nc_u32_e32 v97, s24, v54
	v_add_nc_u32_e32 v108, s24, v50
	s_add_i32 s4, s16, s82
	s_delay_alu instid0(SALU_CYCLE_1)
	v_add3_u32 v59, s4, s4, v59
	s_waitcnt vmcnt(12)
	v_dot4_i32_iu8 v0, v78, v79, v0 neg_lo:[1,1,0]
	s_waitcnt vmcnt(11)
	v_dot4_i32_iu8 v1, v78, v5, v1 neg_lo:[1,1,0]
	v_dot4_i32_iu8 v2, v78, v6, v2 neg_lo:[1,1,0]
	v_dot4_i32_iu8 v3, v78, v7, v3 neg_lo:[1,1,0]
	s_waitcnt vmcnt(9)
	v_dot4_i32_iu8 v13, v9, v5, v13 neg_lo:[1,1,0]
	v_dot4_i32_iu8 v14, v9, v6, v14 neg_lo:[1,1,0]
	;; [unrolled: 4-line block ×4, first 2 shown]
	v_dot4_i32_iu8 v6, v11, v6, v22 neg_lo:[1,1,0]
	v_dot4_i32_iu8 v7, v11, v7, v23 neg_lo:[1,1,0]
	s_waitcnt vmcnt(5)
	v_dot4_i32_iu8 v20, v78, v8, v24 neg_lo:[1,1,0]
	s_waitcnt vmcnt(4)
	v_dot4_i32_iu8 v21, v78, v29, v25 neg_lo:[1,1,0]
	v_dot4_i32_iu8 v22, v78, v30, v26 neg_lo:[1,1,0]
	;; [unrolled: 1-line block ×4, first 2 shown]
	s_waitcnt vmcnt(3)
	v_dot4_i32_iu8 v24, v9, v8, v66 neg_lo:[1,1,0]
	v_dot4_i32_iu8 v25, v9, v29, v67 neg_lo:[1,1,0]
	;; [unrolled: 1-line block ×4, first 2 shown]
	s_waitcnt vmcnt(0)
	v_add_co_u32 v28, vcc_lo, v32, v36
	v_dot4_i32_iu8 v16, v10, v79, v16 neg_lo:[1,1,0]
	v_dot4_i32_iu8 v66, v10, v8, v70 neg_lo:[1,1,0]
	;; [unrolled: 1-line block ×9, first 2 shown]
	v_add_co_ci_u32_e32 v29, vcc_lo, 0, v33, vcc_lo
	s_clause 0x7
	scratch_store_b128 off, v[0:3], off offset:272
	scratch_store_b128 off, v[20:23], off offset:288
	;; [unrolled: 1-line block ×8, first 2 shown]
	s_clause 0x7
	flat_store_b32 v[28:29], v80
	flat_store_b32 v[28:29], v61 offset:512
	flat_store_b32 v[28:29], v60 offset:1024
	;; [unrolled: 1-line block ×7, first 2 shown]
	scratch_load_b64 v[20:21], off, off offset:448
	v_add_nc_u32_e32 v0, v97, v34
	v_add_nc_u32_e32 v9, v48, v45
	v_add_nc_u32_e32 v12, v47, v45
	v_perm_b32 v8, v105, v105, 0x3020104
	s_delay_alu instid0(VALU_DEP_4) | instskip(SKIP_1) | instid1(VALU_DEP_2)
	v_lshrrev_b32_e32 v2, s69, v0
	v_add_nc_u32_e32 v0, v108, v101
	v_mul_hi_u32 v1, v2, s70
	s_delay_alu instid0(VALU_DEP_2) | instskip(NEXT) | instid1(VALU_DEP_1)
	v_lshrrev_b32_e32 v101, s69, v0
	v_mul_hi_u32 v0, v101, s70
	v_mul_lo_u32 v43, s91, v101
	s_delay_alu instid0(VALU_DEP_4) | instskip(NEXT) | instid1(VALU_DEP_1)
	v_add_nc_u32_e32 v1, v2, v1
	v_lshrrev_b32_e32 v3, s68, v1
	s_delay_alu instid0(VALU_DEP_4) | instskip(SKIP_2) | instid1(VALU_DEP_4)
	v_add_nc_u32_e32 v4, v101, v0
	v_mad_u64_u32 v[0:1], null, s91, v2, v[97:98]
	v_add_nc_u32_e32 v6, v108, v43
	v_mul_lo_u32 v1, v3, s66
	s_delay_alu instid0(VALU_DEP_4) | instskip(SKIP_2) | instid1(VALU_DEP_3)
	v_lshrrev_b32_e32 v60, s68, v4
	v_sub_nc_u32_e32 v7, v3, v65
	v_sub_nc_u32_e32 v4, v0, v42
	v_mul_lo_u32 v5, v60, s66
	s_delay_alu instid0(VALU_DEP_3)
	v_mul_lo_u32 v42, v7, s64
	v_sub_nc_u32_e32 v2, v2, v1
	v_sub_nc_u32_e32 v0, v6, v0
	v_mul_lo_u32 v1, v4, s39
	v_sub_nc_u32_e32 v3, v60, v3
	v_perm_b32 v6, v99, v99, 0x3020104
	v_sub_nc_u32_e32 v4, v2, v64
	v_sub_nc_u32_e32 v61, v101, v5
	v_mul_lo_u32 v0, v0, s39
	v_mul_lo_u32 v109, v3, s64
	v_perm_b32 v5, v103, v103, 0x3020104
	v_mul_lo_u32 v64, v4, s62
	v_sub_nc_u32_e32 v4, v61, v2
	v_mad_u64_u32 v[2:3], null, v42, s37, v[1:2]
	v_perm_b32 v7, v107, v107, 0x3020104
	s_delay_alu instid0(VALU_DEP_3) | instskip(SKIP_1) | instid1(VALU_DEP_1)
	v_mul_lo_u32 v110, v4, s62
	v_mul_lo_u32 v1, v64, s38
	v_mad_u64_u32 v[3:4], null, v109, s37, v[0:1]
	s_delay_alu instid0(VALU_DEP_3) | instskip(SKIP_1) | instid1(VALU_DEP_1)
	v_mul_lo_u32 v4, v110, s38
	v_add3_u32 v2, v2, v1, v100
	v_add3_u32 v34, v3, v4, v2
	s_waitcnt vmcnt(0)
	v_add_co_u32 v0, vcc_lo, v20, v36
	v_add_co_ci_u32_e32 v1, vcc_lo, 0, v21, vcc_lo
	s_clause 0x7
	flat_store_b32 v[0:1], v5
	flat_store_b32 v[0:1], v102 offset:512
	flat_store_b32 v[0:1], v6 offset:1024
	;; [unrolled: 1-line block ×7, first 2 shown]
	s_clause 0x1
	buffer_load_b128 v[0:3], v2, s[40:43], 0 offen
	buffer_load_b128 v[4:7], v34, s[40:43], 0 offen
	s_clause 0x1
	buffer_load_b128 v[8:11], v9, s[44:47], 0 offen
	buffer_load_b128 v[12:15], v12, s[44:47], 0 offen
	s_waitcnt vmcnt(0) lgkmcnt(0)
	s_waitcnt_vscnt null, 0x0
	s_barrier
	s_clause 0x1
	scratch_load_b32 v16, off, off offset:80
	scratch_load_b32 v22, off, off offset:112
	s_clause 0x3
	scratch_store_b128 off, v[38:41], off
	scratch_store_b128 off, v[38:41], off offset:16
	scratch_store_b128 off, v[38:41], off offset:32
	;; [unrolled: 1-line block ×3, first 2 shown]
	v_add_nc_u32_e32 v42, v42, v63
	s_delay_alu instid0(VALU_DEP_1) | instskip(SKIP_2) | instid1(VALU_DEP_3)
	v_add_nc_u32_e32 v63, v109, v42
	v_cmp_le_i32_e64 s7, s29, v42
	v_cmp_gt_i32_e64 s8, s28, v42
	v_cmp_le_i32_e64 s9, s29, v63
	v_cmp_gt_i32_e64 s10, s28, v63
	s_delay_alu instid0(VALU_DEP_3) | instskip(NEXT) | instid1(VALU_DEP_1)
	s_and_b32 s7, s7, s8
	s_and_b32 s8, s9, s10
	s_waitcnt vmcnt(1)
	v_ashrrev_i32_e32 v17, 31, v16
	v_add_co_u32 v32, vcc_lo, v32, v16
	s_waitcnt vmcnt(0)
	v_ashrrev_i32_e32 v23, 31, v22
	s_delay_alu instid0(VALU_DEP_3) | instskip(SKIP_1) | instid1(VALU_DEP_3)
	v_add_co_ci_u32_e32 v33, vcc_lo, v33, v17, vcc_lo
	v_add_co_u32 v24, vcc_lo, v20, v22
	v_add_co_ci_u32_e32 v25, vcc_lo, v21, v23, vcc_lo
	flat_load_b128 v[16:19], v[32:33]
	v_cmp_gt_i32_e32 vcc_lo, s79, v97
	s_waitcnt vmcnt(0) lgkmcnt(0)
	scratch_store_b128 off, v[16:19], off
	flat_load_b128 v[20:23], v[24:25]
	s_waitcnt vmcnt(0) lgkmcnt(0)
	scratch_store_b128 off, v[20:23], off offset:32
	flat_load_b128 v[24:27], v[24:25] offset:256
	s_clause 0x7
	scratch_load_b128 v[28:31], off, off offset:144
	scratch_load_b128 v[65:68], off, off offset:176
	;; [unrolled: 1-line block ×8, first 2 shown]
	s_waitcnt vmcnt(8) lgkmcnt(0)
	scratch_store_b128 off, v[24:27], off offset:48
	flat_load_b128 v[93:96], v[32:33] offset:256
	v_add_nc_u32_e32 v32, s80, v48
	s_delay_alu instid0(VALU_DEP_1) | instskip(SKIP_1) | instid1(VALU_DEP_1)
	v_cmp_gt_i32_e64 s5, s74, v32
	v_add_nc_u32_e32 v32, v64, v62
	v_cmp_le_i32_e64 s11, s58, v32
	v_cmp_gt_i32_e64 s12, s59, v32
	v_add_nc_u32_e32 v62, v110, v32
	s_delay_alu instid0(VALU_DEP_2) | instskip(NEXT) | instid1(VALU_DEP_1)
	s_and_b32 s9, s11, s12
	v_cmp_le_i32_e64 s13, s58, v62
	s_and_b32 s9, vcc_lo, s9
	v_cmp_gt_i32_e64 s14, s59, v62
	s_and_b32 s7, s7, s9
	s_delay_alu instid0(SALU_CYCLE_1) | instskip(SKIP_4) | instid1(VALU_DEP_3)
	s_and_b32 vcc_lo, s3, s7
	v_dual_cndmask_b32 v98, 0, v1 :: v_dual_add_nc_u32 v33, s80, v47
	v_cndmask_b32_e32 v99, 0, v0, vcc_lo
	v_cmp_gt_i32_e64 s4, s79, v108
	s_and_b32 s10, s13, s14
	v_cmp_gt_i32_e64 s6, s74, v33
	v_dual_cndmask_b32 v42, 0, v3 :: v_dual_cndmask_b32 v97, 0, v2
	s_delay_alu instid0(VALU_DEP_3)
	s_and_b32 s4, s4, s10
	v_mul_lo_u32 v33, v101, s67
	s_and_b32 s4, s8, s4
	s_waitcnt vmcnt(8)
	v_dot4_i32_iu8 v0, v16, v20, v28 neg_lo:[1,1,0]
	s_and_b32 vcc_lo, s3, s4
	v_dot4_i32_iu8 v1, v16, v21, v29 neg_lo:[1,1,0]
	v_dual_cndmask_b32 v100, 0, v7 :: v_dual_cndmask_b32 v101, 0, v6
	v_dual_cndmask_b32 v102, 0, v5 :: v_dual_cndmask_b32 v103, 0, v4
	s_and_b32 vcc_lo, s2, s5
	v_dot4_i32_iu8 v2, v16, v22, v30 neg_lo:[1,1,0]
	v_dual_cndmask_b32 v104, 0, v11 :: v_dual_cndmask_b32 v105, 0, v10
	v_dual_cndmask_b32 v106, 0, v9 :: v_dual_cndmask_b32 v107, 0, v8
	;; [unrolled: 4-line block ×3, first 2 shown]
	s_waitcnt vmcnt(7)
	v_dot4_i32_iu8 v4, v17, v20, v65 neg_lo:[1,1,0]
	v_dot4_i32_iu8 v5, v17, v21, v66 neg_lo:[1,1,0]
	v_dot4_i32_iu8 v6, v17, v22, v67 neg_lo:[1,1,0]
	v_dot4_i32_iu8 v7, v17, v23, v68 neg_lo:[1,1,0]
	s_waitcnt vmcnt(6)
	v_dot4_i32_iu8 v8, v18, v20, v69 neg_lo:[1,1,0]
	v_dot4_i32_iu8 v9, v18, v21, v70 neg_lo:[1,1,0]
	v_dot4_i32_iu8 v10, v18, v22, v71 neg_lo:[1,1,0]
	v_dot4_i32_iu8 v11, v18, v23, v72 neg_lo:[1,1,0]
	;; [unrolled: 5-line block ×7, first 2 shown]
	v_sub_nc_u32_e32 v64, v59, v33
	s_clause 0x7
	scratch_store_b128 off, v[0:3], off offset:144
	scratch_store_b128 off, v[20:23], off offset:160
	;; [unrolled: 1-line block ×8, first 2 shown]
	s_waitcnt vmcnt(0) lgkmcnt(0)
	scratch_store_b128 off, v[93:96], off offset:16
	v_dual_mov_b32 v9, s27 :: v_dual_mov_b32 v0, s51
	v_mov_b32_e32 v11, s53
	v_dual_mov_b32 v1, s15 :: v_dual_mov_b32 v2, s52
	v_dual_mov_b32 v3, s54 :: v_dual_mov_b32 v4, s83
	;; [unrolled: 1-line block ×4, first 2 shown]
	v_mov_b32_e32 v10, s50
	s_swappc_b64 s[30:31], s[22:23]
	s_clause 0xe
	scratch_load_b32 v77, off, off offset:16
	scratch_load_b32 v78, off, off offset:32
	scratch_load_b128 v[2:5], off, off offset:272
	scratch_load_b128 v[6:9], off, off offset:32
	;; [unrolled: 1-line block ×6, first 2 shown]
	scratch_load_b32 v10, off, off offset:48
	scratch_load_b128 v[26:29], off, off offset:288
	scratch_load_b128 v[30:33], off, off offset:48
	;; [unrolled: 1-line block ×5, first 2 shown]
	scratch_load_b64 v[0:1], off, off offset:400
	v_perm_b32 v79, v99, v99, 0x3020104
	v_perm_b32 v80, v97, v97, 0x3020104
	;; [unrolled: 1-line block ×4, first 2 shown]
	v_add_nc_u32_e32 v45, s89, v45
	v_add_nc_u32_e32 v58, s90, v58
	;; [unrolled: 1-line block ×5, first 2 shown]
	s_add_i32 s87, s87, 32
	s_add_i32 s80, s80, s89
	;; [unrolled: 1-line block ×3, first 2 shown]
	s_cmp_lt_i32 s87, s88
	s_waitcnt vmcnt(12)
	v_dot4_i32_iu8 v2, v77, v78, v2 neg_lo:[1,1,0]
	s_waitcnt vmcnt(11)
	v_dot4_i32_iu8 v3, v77, v7, v3 neg_lo:[1,1,0]
	v_dot4_i32_iu8 v4, v77, v8, v4 neg_lo:[1,1,0]
	v_dot4_i32_iu8 v5, v77, v9, v5 neg_lo:[1,1,0]
	s_waitcnt vmcnt(9)
	v_dot4_i32_iu8 v15, v11, v7, v15 neg_lo:[1,1,0]
	v_dot4_i32_iu8 v16, v11, v8, v16 neg_lo:[1,1,0]
	;; [unrolled: 4-line block ×4, first 2 shown]
	v_dot4_i32_iu8 v8, v13, v8, v24 neg_lo:[1,1,0]
	v_dot4_i32_iu8 v9, v13, v9, v25 neg_lo:[1,1,0]
	s_waitcnt vmcnt(5)
	v_dot4_i32_iu8 v22, v77, v10, v26 neg_lo:[1,1,0]
	s_waitcnt vmcnt(4)
	v_dot4_i32_iu8 v23, v77, v31, v27 neg_lo:[1,1,0]
	v_dot4_i32_iu8 v24, v77, v32, v28 neg_lo:[1,1,0]
	;; [unrolled: 1-line block ×4, first 2 shown]
	s_waitcnt vmcnt(3)
	v_dot4_i32_iu8 v26, v11, v10, v65 neg_lo:[1,1,0]
	v_dot4_i32_iu8 v27, v11, v31, v66 neg_lo:[1,1,0]
	;; [unrolled: 1-line block ×4, first 2 shown]
	s_waitcnt vmcnt(0)
	v_add_co_u32 v30, vcc_lo, v0, v36
	v_dot4_i32_iu8 v18, v12, v78, v18 neg_lo:[1,1,0]
	v_dot4_i32_iu8 v65, v12, v10, v69 neg_lo:[1,1,0]
	;; [unrolled: 1-line block ×9, first 2 shown]
	v_add_co_ci_u32_e32 v31, vcc_lo, 0, v1, vcc_lo
	s_clause 0x7
	scratch_store_b128 off, v[2:5], off offset:272
	scratch_store_b128 off, v[22:25], off offset:288
	;; [unrolled: 1-line block ×8, first 2 shown]
	s_clause 0x7
	flat_store_b32 v[30:31], v79
	flat_store_b32 v[30:31], v98 offset:512
	flat_store_b32 v[30:31], v80 offset:1024
	;; [unrolled: 1-line block ×7, first 2 shown]
	scratch_load_b64 v[2:3], off, off offset:416
	v_perm_b32 v6, v107, v107, 0x3020104
	v_perm_b32 v7, v105, v105, 0x3020104
	;; [unrolled: 1-line block ×4, first 2 shown]
	s_waitcnt vmcnt(0)
	v_add_co_u32 v4, vcc_lo, v2, v36
	v_add_co_ci_u32_e32 v5, vcc_lo, 0, v3, vcc_lo
	s_clause 0x7
	flat_store_b32 v[4:5], v6
	flat_store_b32 v[4:5], v106 offset:512
	flat_store_b32 v[4:5], v7 offset:1024
	;; [unrolled: 1-line block ×7, first 2 shown]
	s_cbranch_scc1 .LBB6_1
; %bb.2:
	s_waitcnt lgkmcnt(0)
	s_waitcnt_vscnt null, 0x0
	s_barrier
	s_clause 0x1
	scratch_load_b32 v4, off, off offset:80
	scratch_load_b32 v8, off, off offset:112
	s_mov_b32 s4, 0
	v_add3_u32 v59, s82, s24, v44
	s_mov_b32 s7, s4
	s_mov_b32 s5, s4
	;; [unrolled: 1-line block ×3, first 2 shown]
	s_delay_alu instid0(SALU_CYCLE_1)
	v_dual_mov_b32 v41, s7 :: v_dual_mov_b32 v40, s6
	v_dual_mov_b32 v39, s5 :: v_dual_mov_b32 v38, s4
	s_clause 0x3
	scratch_store_b128 off, v[38:41], off
	scratch_store_b128 off, v[38:41], off offset:16
	scratch_store_b128 off, v[38:41], off offset:32
	;; [unrolled: 1-line block ×3, first 2 shown]
	v_mul_hi_u32 v12, v59, s81
	v_add_nc_u32_e32 v80, s16, v59
	v_add3_u32 v16, v44, v43, s24
	s_mul_i32 s75, s75, 12
	s_load_b64 s[30:31], s[0:1], 0x10
	s_mul_i32 s0, s20, s55
	v_mul_hi_u32 v13, v80, s81
	s_mul_hi_u32 s1, s20, s25
	v_add_nc_u32_e32 v12, v59, v12
	s_add_u32 s16, s60, s71
	s_mul_i32 s4, s21, s25
	s_addc_u32 s17, s61, s17
	s_add_i32 s0, s1, s0
	v_lshrrev_b32_e32 v14, s69, v12
	v_add_nc_u32_e32 v13, v80, v13
	s_add_i32 s14, s0, s4
	s_mul_i32 s5, s20, s25
	s_mov_b64 s[12:13], src_private_base
	v_mul_hi_u32 v12, v14, s70
	v_lshrrev_b32_e32 v17, s69, v13
	s_delay_alu instid0(VALU_DEP_1) | instskip(SKIP_2) | instid1(VALU_DEP_3)
	v_mul_hi_u32 v13, v17, s70
	s_waitcnt lgkmcnt(0)
	s_add_u32 s24, s30, s5
	v_add_nc_u32_e32 v12, v14, v12
	s_addc_u32 s25, s31, s14
	s_delay_alu instid0(VALU_DEP_1) | instskip(SKIP_1) | instid1(VALU_DEP_4)
	v_lshrrev_b32_e32 v18, s68, v12
	v_mul_lo_u32 v12, v14, s67
	v_add_nc_u32_e32 v13, v17, v13
	s_delay_alu instid0(VALU_DEP_3) | instskip(SKIP_1) | instid1(VALU_DEP_3)
	v_mul_lo_u32 v15, v18, s66
	v_sub_nc_u32_e32 v20, v18, v60
	v_lshrrev_b32_e32 v19, s68, v13
	v_sub_nc_u32_e32 v12, v59, v12
	s_delay_alu instid0(VALU_DEP_3) | instskip(SKIP_1) | instid1(VALU_DEP_1)
	v_mul_lo_u32 v60, v20, s64
	v_sub_nc_u32_e32 v13, v14, v15
	v_mad_u64_u32 v[14:15], null, v17, s67, v[12:13]
	v_sub_nc_u32_e32 v12, v12, v16
	s_delay_alu instid0(VALU_DEP_1) | instskip(NEXT) | instid1(VALU_DEP_3)
	v_mul_lo_u32 v12, v12, s39
	v_mad_u64_u32 v[15:16], null, v19, s66, v[13:14]
	v_sub_nc_u32_e32 v13, v13, v61
	v_sub_nc_u32_e32 v14, v80, v14
	;; [unrolled: 1-line block ×3, first 2 shown]
	s_delay_alu instid0(VALU_DEP_3) | instskip(NEXT) | instid1(VALU_DEP_3)
	v_mul_lo_u32 v61, v13, s62
	v_mul_lo_u32 v13, v14, s39
	v_sub_nc_u32_e32 v15, v17, v15
	s_delay_alu instid0(VALU_DEP_4) | instskip(SKIP_1) | instid1(VALU_DEP_3)
	v_mul_lo_u32 v81, v16, s64
	v_add3_u32 v14, v46, v45, s75
	v_mul_lo_u32 v82, v15, s62
	v_mad_u64_u32 v[16:17], null, v60, s37, v[12:13]
	v_mul_lo_u32 v17, v61, s38
	s_delay_alu instid0(VALU_DEP_4) | instskip(SKIP_2) | instid1(VALU_DEP_4)
	v_mad_u64_u32 v[20:21], null, v81, s37, v[13:14]
	v_add_nc_u32_e32 v18, s78, v14
	v_mul_lo_u32 v21, v82, s38
	v_add3_u32 v22, v16, v17, v34
	s_delay_alu instid0(VALU_DEP_1)
	v_add3_u32 v24, v20, v21, v22
	s_waitcnt vmcnt(1)
	v_ashrrev_i32_e32 v5, 31, v4
	v_add_co_u32 v32, vcc_lo, v0, v4
	s_waitcnt vmcnt(0)
	v_ashrrev_i32_e32 v0, 31, v8
	s_delay_alu instid0(VALU_DEP_3) | instskip(SKIP_1) | instid1(VALU_DEP_3)
	v_add_co_ci_u32_e32 v33, vcc_lo, v1, v5, vcc_lo
	v_add_co_u32 v8, vcc_lo, v2, v8
	v_add_co_ci_u32_e32 v9, vcc_lo, v3, v0, vcc_lo
	flat_load_b128 v[4:7], v[32:33]
	v_cmp_gt_i32_e32 vcc_lo, s79, v59
	s_waitcnt vmcnt(0) lgkmcnt(0)
	scratch_store_b128 off, v[4:7], off
	flat_load_b128 v[0:3], v[8:9]
	s_waitcnt vmcnt(0) lgkmcnt(0)
	scratch_store_b128 off, v[0:3], off offset:32
	flat_load_b128 v[8:11], v[8:9] offset:256
	s_clause 0x1
	buffer_load_b128 v[12:15], v14, s[44:47], 0 offen
	buffer_load_b128 v[16:19], v18, s[44:47], 0 offen
	s_clause 0x1
	buffer_load_b128 v[20:23], v22, s[40:43], 0 offen
	buffer_load_b128 v[24:27], v24, s[40:43], 0 offen
	s_clause 0x7
	scratch_load_b128 v[28:31], off, off offset:144
	scratch_load_b128 v[42:45], off, off offset:176
	;; [unrolled: 1-line block ×8, first 2 shown]
	v_add_nc_u32_e32 v34, v60, v63
	s_delay_alu instid0(VALU_DEP_1) | instskip(SKIP_1) | instid1(VALU_DEP_1)
	v_cmp_le_i32_e64 s5, s29, v34
	v_cmp_gt_i32_e64 s6, s28, v34
	s_and_b32 s5, s5, s6
	s_waitcnt vmcnt(12) lgkmcnt(0)
	scratch_store_b128 off, v[8:11], off offset:48
	flat_load_b128 v[76:79], v[32:33] offset:256
	v_add3_u32 v32, s75, s80, v46
	s_delay_alu instid0(VALU_DEP_1) | instskip(SKIP_2) | instid1(VALU_DEP_3)
	v_add_nc_u32_e32 v33, s78, v32
	v_cmp_gt_i32_e64 s0, s74, v32
	v_add_nc_u32_e32 v32, v61, v62
	v_cmp_gt_i32_e64 s4, s74, v33
	v_add_nc_u32_e32 v33, v81, v34
	s_delay_alu instid0(VALU_DEP_3) | instskip(SKIP_2) | instid1(VALU_DEP_4)
	v_cmp_le_i32_e64 s9, s58, v32
	v_cmp_gt_i32_e64 s10, s59, v32
	v_add_nc_u32_e32 v34, v82, v32
	v_cmp_le_i32_e64 s7, s29, v33
	v_cmp_gt_i32_e64 s8, s28, v33
	s_delay_alu instid0(VALU_DEP_3) | instskip(SKIP_1) | instid1(VALU_DEP_3)
	v_cmp_le_i32_e64 s11, s58, v34
	v_cmp_gt_i32_e64 s12, s59, v34
	s_and_b32 s6, s7, s8
	s_and_b32 s7, s9, s10
	s_delay_alu instid0(SALU_CYCLE_1)
	s_and_b32 s7, vcc_lo, s7
	s_and_b32 vcc_lo, s2, s0
	s_and_b32 s8, s11, s12
	s_waitcnt vmcnt(12)
	v_cndmask_b32_e32 v59, 0, v14, vcc_lo
	v_cmp_gt_i32_e64 s1, s79, v80
	s_and_b32 s5, s5, s7
	v_cndmask_b32_e32 v34, 0, v15, vcc_lo
	v_dual_cndmask_b32 v60, 0, v13 :: v_dual_cndmask_b32 v61, 0, v12
	s_delay_alu instid0(VALU_DEP_3)
	s_and_b32 s1, s1, s8
	s_and_b32 vcc_lo, s2, s4
	s_and_b32 s1, s6, s1
	s_waitcnt vmcnt(11)
	v_dual_cndmask_b32 v62, 0, v19 :: v_dual_cndmask_b32 v63, 0, v18
	v_dual_cndmask_b32 v80, 0, v17 :: v_dual_cndmask_b32 v81, 0, v16
	s_and_b32 vcc_lo, s3, s5
	s_waitcnt vmcnt(8)
	v_dot4_i32_iu8 v12, v4, v0, v28 neg_lo:[1,1,0]
	v_dual_cndmask_b32 v82, 0, v23 :: v_dual_cndmask_b32 v83, 0, v22
	v_dual_cndmask_b32 v84, 0, v21 :: v_dual_cndmask_b32 v85, 0, v20
	s_and_b32 vcc_lo, s3, s1
	v_dot4_i32_iu8 v13, v4, v1, v29 neg_lo:[1,1,0]
	v_dot4_i32_iu8 v14, v4, v2, v30 neg_lo:[1,1,0]
	v_dot4_i32_iu8 v15, v4, v3, v31 neg_lo:[1,1,0]
	v_dual_cndmask_b32 v86, 0, v27 :: v_dual_cndmask_b32 v87, 0, v26
	v_dual_cndmask_b32 v88, 0, v25 :: v_dual_cndmask_b32 v89, 0, v24
	s_waitcnt vmcnt(4)
	v_dot4_i32_iu8 v24, v4, v8, v55 neg_lo:[1,1,0]
	v_dot4_i32_iu8 v25, v4, v9, v56 neg_lo:[1,1,0]
	;; [unrolled: 1-line block ×8, first 2 shown]
	s_waitcnt vmcnt(3)
	v_dot4_i32_iu8 v28, v5, v8, v64 neg_lo:[1,1,0]
	v_dot4_i32_iu8 v29, v5, v9, v65 neg_lo:[1,1,0]
	;; [unrolled: 1-line block ×12, first 2 shown]
	s_waitcnt vmcnt(2)
	v_dot4_i32_iu8 v42, v6, v8, v68 neg_lo:[1,1,0]
	v_dot4_i32_iu8 v43, v6, v9, v69 neg_lo:[1,1,0]
	;; [unrolled: 1-line block ×4, first 2 shown]
	s_waitcnt vmcnt(1)
	v_dot4_i32_iu8 v4, v7, v8, v72 neg_lo:[1,1,0]
	v_dot4_i32_iu8 v5, v7, v9, v73 neg_lo:[1,1,0]
	v_mov_b32_e32 v9, s27
	v_dot4_i32_iu8 v6, v7, v10, v74 neg_lo:[1,1,0]
	v_dot4_i32_iu8 v7, v7, v11, v75 neg_lo:[1,1,0]
	v_mov_b32_e32 v8, s19
	v_mov_b32_e32 v10, s63
	s_clause 0x7
	scratch_store_b128 off, v[12:15], off offset:144
	scratch_store_b128 off, v[24:27], off offset:160
	;; [unrolled: 1-line block ×8, first 2 shown]
	s_waitcnt vmcnt(0) lgkmcnt(0)
	scratch_store_b128 off, v[76:79], off offset:16
	v_dual_mov_b32 v0, s51 :: v_dual_mov_b32 v5, s13
	v_dual_mov_b32 v1, s15 :: v_dual_mov_b32 v2, s65
	v_mov_b32_e32 v7, s13
	v_dual_mov_b32 v3, s77 :: v_dual_mov_b32 v4, 0
	v_dual_mov_b32 v11, s76 :: v_dual_mov_b32 v6, 32
	s_swappc_b64 s[30:31], s[22:23]
	s_clause 0xe
	scratch_load_b32 v54, off, off offset:16
	scratch_load_b32 v55, off, off offset:32
	scratch_load_b128 v[0:3], off, off offset:272
	scratch_load_b128 v[4:7], off, off offset:32
	;; [unrolled: 1-line block ×6, first 2 shown]
	scratch_load_b32 v8, off, off offset:48
	scratch_load_b128 v[24:27], off, off offset:288
	scratch_load_b128 v[28:31], off, off offset:48
	;; [unrolled: 1-line block ×5, first 2 shown]
	scratch_load_b64 v[32:33], off, off offset:432
	v_perm_b32 v56, v85, v85, 0x3020104
	v_perm_b32 v57, v83, v83, 0x3020104
	;; [unrolled: 1-line block ×4, first 2 shown]
	s_waitcnt vmcnt(12)
	v_dot4_i32_iu8 v0, v54, v55, v0 neg_lo:[1,1,0]
	s_waitcnt vmcnt(11)
	v_dot4_i32_iu8 v1, v54, v5, v1 neg_lo:[1,1,0]
	v_dot4_i32_iu8 v2, v54, v6, v2 neg_lo:[1,1,0]
	v_dot4_i32_iu8 v3, v54, v7, v3 neg_lo:[1,1,0]
	s_waitcnt vmcnt(9)
	v_dot4_i32_iu8 v13, v9, v5, v13 neg_lo:[1,1,0]
	v_dot4_i32_iu8 v14, v9, v6, v14 neg_lo:[1,1,0]
	;; [unrolled: 4-line block ×4, first 2 shown]
	v_dot4_i32_iu8 v6, v11, v6, v22 neg_lo:[1,1,0]
	v_dot4_i32_iu8 v7, v11, v7, v23 neg_lo:[1,1,0]
	s_waitcnt vmcnt(5)
	v_dot4_i32_iu8 v20, v54, v8, v24 neg_lo:[1,1,0]
	s_waitcnt vmcnt(4)
	v_dot4_i32_iu8 v21, v54, v29, v25 neg_lo:[1,1,0]
	v_dot4_i32_iu8 v22, v54, v30, v26 neg_lo:[1,1,0]
	;; [unrolled: 1-line block ×4, first 2 shown]
	s_waitcnt vmcnt(3)
	v_dot4_i32_iu8 v24, v9, v8, v42 neg_lo:[1,1,0]
	v_dot4_i32_iu8 v25, v9, v29, v43 neg_lo:[1,1,0]
	;; [unrolled: 1-line block ×4, first 2 shown]
	s_waitcnt vmcnt(0)
	v_add_co_u32 v28, vcc_lo, v32, v36
	v_dot4_i32_iu8 v16, v10, v55, v16 neg_lo:[1,1,0]
	v_dot4_i32_iu8 v42, v10, v8, v46 neg_lo:[1,1,0]
	;; [unrolled: 1-line block ×9, first 2 shown]
	v_add_co_ci_u32_e32 v29, vcc_lo, 0, v33, vcc_lo
	s_clause 0x7
	scratch_store_b128 off, v[0:3], off offset:272
	scratch_store_b128 off, v[20:23], off offset:288
	;; [unrolled: 1-line block ×8, first 2 shown]
	s_clause 0x7
	flat_store_b32 v[28:29], v56
	flat_store_b32 v[28:29], v84 offset:512
	flat_store_b32 v[28:29], v57 offset:1024
	;; [unrolled: 1-line block ×7, first 2 shown]
	scratch_load_b64 v[4:5], off, off offset:448
	v_perm_b32 v2, v61, v61, 0x3020104
	v_perm_b32 v3, v59, v59, 0x3020104
	;; [unrolled: 1-line block ×4, first 2 shown]
	s_waitcnt vmcnt(0)
	v_add_co_u32 v0, vcc_lo, v4, v36
	v_add_co_ci_u32_e32 v1, vcc_lo, 0, v5, vcc_lo
	s_clause 0x7
	flat_store_b32 v[0:1], v2
	flat_store_b32 v[0:1], v60 offset:512
	flat_store_b32 v[0:1], v3 offset:1024
	;; [unrolled: 1-line block ×7, first 2 shown]
	s_waitcnt lgkmcnt(0)
	s_waitcnt_vscnt null, 0x0
	s_barrier
	s_clause 0x1
	scratch_load_b32 v0, off, off offset:80
	scratch_load_b32 v6, off, off offset:112
	s_clause 0x3
	scratch_store_b128 off, v[38:41], off
	scratch_store_b128 off, v[38:41], off offset:16
	scratch_store_b128 off, v[38:41], off offset:32
	;; [unrolled: 1-line block ×3, first 2 shown]
	s_waitcnt vmcnt(1)
	v_ashrrev_i32_e32 v1, 31, v0
	v_add_co_u32 v32, vcc_lo, v32, v0
	s_waitcnt vmcnt(0)
	v_ashrrev_i32_e32 v7, 31, v6
	s_delay_alu instid0(VALU_DEP_3) | instskip(SKIP_1) | instid1(VALU_DEP_3)
	v_add_co_ci_u32_e32 v33, vcc_lo, v33, v1, vcc_lo
	v_add_co_u32 v8, vcc_lo, v4, v6
	v_add_co_ci_u32_e32 v9, vcc_lo, v5, v7, vcc_lo
	flat_load_b128 v[0:3], v[32:33]
	s_waitcnt vmcnt(0) lgkmcnt(0)
	scratch_store_b128 off, v[0:3], off
	flat_load_b128 v[4:7], v[8:9]
	s_waitcnt vmcnt(0) lgkmcnt(0)
	scratch_store_b128 off, v[4:7], off offset:32
	flat_load_b128 v[8:11], v[8:9] offset:256
	s_clause 0x7
	scratch_load_b128 v[12:15], off, off offset:144
	scratch_load_b128 v[16:19], off, off offset:176
	;; [unrolled: 1-line block ×8, first 2 shown]
	s_waitcnt vmcnt(8) lgkmcnt(0)
	scratch_store_b128 off, v[8:11], off offset:48
	flat_load_b128 v[50:53], v[32:33] offset:256
	s_waitcnt vmcnt(8)
	v_dot4_i32_iu8 v12, v0, v4, v12 neg_lo:[1,1,0]
	v_dot4_i32_iu8 v13, v0, v5, v13 neg_lo:[1,1,0]
	v_dot4_i32_iu8 v14, v0, v6, v14 neg_lo:[1,1,0]
	v_dot4_i32_iu8 v15, v0, v7, v15 neg_lo:[1,1,0]
	s_waitcnt vmcnt(7)
	v_dot4_i32_iu8 v16, v1, v4, v16 neg_lo:[1,1,0]
	v_dot4_i32_iu8 v17, v1, v5, v17 neg_lo:[1,1,0]
	v_dot4_i32_iu8 v18, v1, v6, v18 neg_lo:[1,1,0]
	v_dot4_i32_iu8 v19, v1, v7, v19 neg_lo:[1,1,0]
	;; [unrolled: 5-line block ×8, first 2 shown]
	v_dual_mov_b32 v8, s19 :: v_dual_mov_b32 v9, s27
	v_dual_mov_b32 v10, s50 :: v_dual_mov_b32 v11, s53
	s_clause 0x7
	scratch_store_b128 off, v[12:15], off offset:144
	scratch_store_b128 off, v[24:27], off offset:160
	;; [unrolled: 1-line block ×8, first 2 shown]
	s_waitcnt vmcnt(0) lgkmcnt(0)
	scratch_store_b128 off, v[50:53], off offset:16
	v_dual_mov_b32 v0, s51 :: v_dual_mov_b32 v1, s15
	v_dual_mov_b32 v2, s52 :: v_dual_mov_b32 v3, s54
	;; [unrolled: 1-line block ×4, first 2 shown]
	s_swappc_b64 s[30:31], s[22:23]
	s_clause 0xd
	scratch_load_b32 v34, off, off offset:16
	scratch_load_b32 v36, off, off offset:32
	scratch_load_b128 v[2:5], off, off offset:272
	scratch_load_b128 v[6:9], off, off offset:32
	;; [unrolled: 1-line block ×6, first 2 shown]
	scratch_load_b32 v10, off, off offset:48
	scratch_load_b128 v[26:29], off, off offset:288
	scratch_load_b128 v[30:33], off, off offset:48
	;; [unrolled: 1-line block ×5, first 2 shown]
	v_lshl_add_u32 v1, s48, 7, v35
	v_lshl_add_u32 v0, s49, 7, v37
	s_mov_b32 s27, 0x31004000
	s_lshl_b32 s3, s57, 6
	s_lshl_b32 s12, s35, 6
	s_waitcnt vmcnt(10)
	v_mul_lo_u32 v6, v1, s56
	v_cmp_gt_i32_e64 s0, s73, v0
	v_cmp_gt_i32_e64 s1, s72, v1
	v_add_nc_u32_e32 v72, 0x42, v1
	v_add_nc_u32_e32 v73, 0x43, v1
	s_add_i32 s14, s35, s34
	s_mov_b32 s19, s27
	s_and_b32 vcc_lo, s1, s0
	v_cmp_gt_i32_e64 s7, s33, v72
	v_cmp_gt_i32_e64 s5, s33, v73
	v_cmp_ge_i32_e64 s6, s33, v73
	v_cmp_ge_i32_e64 s8, s33, v72
	s_lshl_b32 s13, s34, 6
	v_dot4_i32_iu8 v2, v34, v36, v2 neg_lo:[1,1,0]
	v_mad_u64_u32 v[50:51], null, v0, s57, v[6:7]
	v_dot4_i32_iu8 v3, v34, v7, v3 neg_lo:[1,1,0]
	v_dot4_i32_iu8 v4, v34, v8, v4 neg_lo:[1,1,0]
	v_dot4_i32_iu8 v5, v34, v9, v5 neg_lo:[1,1,0]
	s_waitcnt vmcnt(8)
	v_dot4_i32_iu8 v15, v11, v7, v15 neg_lo:[1,1,0]
	v_dot4_i32_iu8 v16, v11, v8, v16 neg_lo:[1,1,0]
	v_dot4_i32_iu8 v17, v11, v9, v17 neg_lo:[1,1,0]
	s_waitcnt vmcnt(7)
	;; [unrolled: 4-line block ×3, first 2 shown]
	v_dot4_i32_iu8 v6, v13, v36, v22 neg_lo:[1,1,0]
	v_dot4_i32_iu8 v7, v13, v7, v23 neg_lo:[1,1,0]
	;; [unrolled: 1-line block ×4, first 2 shown]
	s_waitcnt vmcnt(4)
	v_dot4_i32_iu8 v22, v34, v10, v26 neg_lo:[1,1,0]
	s_waitcnt vmcnt(3)
	v_dot4_i32_iu8 v23, v34, v31, v27 neg_lo:[1,1,0]
	v_dot4_i32_iu8 v24, v34, v32, v28 neg_lo:[1,1,0]
	;; [unrolled: 1-line block ×4, first 2 shown]
	s_waitcnt vmcnt(2)
	v_dot4_i32_iu8 v26, v11, v10, v38 neg_lo:[1,1,0]
	v_dot4_i32_iu8 v27, v11, v31, v39 neg_lo:[1,1,0]
	;; [unrolled: 1-line block ×5, first 2 shown]
	s_waitcnt vmcnt(1)
	v_dot4_i32_iu8 v34, v12, v10, v42 neg_lo:[1,1,0]
	v_dot4_i32_iu8 v35, v12, v31, v43 neg_lo:[1,1,0]
	;; [unrolled: 1-line block ×4, first 2 shown]
	s_waitcnt vmcnt(0)
	v_dot4_i32_iu8 v10, v13, v10, v46 neg_lo:[1,1,0]
	v_dot4_i32_iu8 v11, v13, v31, v47 neg_lo:[1,1,0]
	;; [unrolled: 1-line block ×4, first 2 shown]
	s_clause 0x7
	scratch_store_b128 off, v[2:5], off offset:272
	scratch_store_b128 off, v[22:25], off offset:288
	;; [unrolled: 1-line block ×8, first 2 shown]
	buffer_load_b32 v6, v50, s[24:27], 0 offen
	scratch_load_b128 v[2:5], off, off offset:144
	s_waitcnt vmcnt(1)
	v_cndmask_b32_e32 v10, 0, v6, vcc_lo
	scratch_load_b128 v[6:9], off, off offset:160
	v_lshrrev_b32_e32 v11, 8, v10
	s_waitcnt vmcnt(1)
	s_delay_alu instid0(VALU_DEP_1) | instskip(NEXT) | instid1(VALU_DEP_1)
	v_add_nc_u16 v3, v11, v3
	v_bfe_i32 v3, v3, 0, 8
	s_delay_alu instid0(VALU_DEP_1) | instskip(NEXT) | instid1(VALU_DEP_1)
	v_max_i16 v3, v3, 0
	v_and_b32_e32 v3, 0xffff, v3
	v_lshrrev_b32_e32 v12, 16, v10
	v_lshrrev_b32_e32 v13, 24, v10
	v_add_nc_u16 v2, v10, v2
	v_add_nc_u32_e32 v10, s3, v50
	s_delay_alu instid0(VALU_DEP_4) | instskip(NEXT) | instid1(VALU_DEP_4)
	v_add_nc_u16 v4, v12, v4
	v_add_nc_u16 v5, v13, v5
	s_delay_alu instid0(VALU_DEP_4) | instskip(SKIP_1) | instid1(VALU_DEP_4)
	v_bfe_i32 v2, v2, 0, 8
	v_add_nc_u32_e32 v12, s56, v50
	v_bfe_i32 v4, v4, 0, 8
	s_delay_alu instid0(VALU_DEP_4) | instskip(NEXT) | instid1(VALU_DEP_4)
	v_bfe_i32 v5, v5, 0, 8
	v_max_i16 v2, v2, 0
	s_delay_alu instid0(VALU_DEP_3) | instskip(NEXT) | instid1(VALU_DEP_3)
	v_max_i16 v4, v4, 0
	v_max_i16 v5, v5, 0
	s_delay_alu instid0(VALU_DEP_3) | instskip(NEXT) | instid1(VALU_DEP_3)
	v_and_b32_e32 v2, 0xffff, v2
	v_and_b32_e32 v4, 0xffff, v4
	s_delay_alu instid0(VALU_DEP_3) | instskip(SKIP_3) | instid1(VALU_DEP_1)
	v_and_b32_e32 v5, 0xffff, v5
	scratch_store_b128 off, v[2:5], off offset:144
	buffer_load_b32 v3, v10, s[24:27], 0 offen
	v_add_nc_u32_e32 v2, 64, v0
	v_cmp_gt_i32_e32 vcc_lo, s73, v2
	s_and_b32 s1, s1, vcc_lo
	s_waitcnt vmcnt(0)
	v_cndmask_b32_e64 v3, 0, v3, s1
	s_delay_alu instid0(VALU_DEP_1) | instskip(SKIP_3) | instid1(VALU_DEP_4)
	v_lshrrev_b32_e32 v4, 8, v3
	v_lshrrev_b32_e32 v5, 16, v3
	;; [unrolled: 1-line block ×3, first 2 shown]
	v_add_nc_u16 v3, v3, v6
	v_add_nc_u16 v4, v4, v7
	s_delay_alu instid0(VALU_DEP_4) | instskip(NEXT) | instid1(VALU_DEP_4)
	v_add_nc_u16 v5, v5, v8
	v_add_nc_u16 v6, v10, v9
	s_delay_alu instid0(VALU_DEP_4) | instskip(NEXT) | instid1(VALU_DEP_4)
	v_bfe_i32 v3, v3, 0, 8
	v_bfe_i32 v4, v4, 0, 8
	s_delay_alu instid0(VALU_DEP_4) | instskip(NEXT) | instid1(VALU_DEP_4)
	v_bfe_i32 v5, v5, 0, 8
	v_bfe_i32 v6, v6, 0, 8
	s_delay_alu instid0(VALU_DEP_4) | instskip(NEXT) | instid1(VALU_DEP_4)
	v_max_i16 v3, v3, 0
	v_max_i16 v4, v4, 0
	s_delay_alu instid0(VALU_DEP_4) | instskip(NEXT) | instid1(VALU_DEP_4)
	v_max_i16 v5, v5, 0
	v_max_i16 v6, v6, 0
	s_delay_alu instid0(VALU_DEP_4) | instskip(NEXT) | instid1(VALU_DEP_4)
	v_and_b32_e32 v3, 0xffff, v3
	v_and_b32_e32 v4, 0xffff, v4
	s_delay_alu instid0(VALU_DEP_4) | instskip(NEXT) | instid1(VALU_DEP_4)
	v_and_b32_e32 v5, 0xffff, v5
	v_and_b32_e32 v6, 0xffff, v6
	scratch_store_b128 off, v[3:6], off offset:160
	buffer_load_b32 v8, v12, s[24:27], 0 offen
	scratch_load_b128 v[4:7], off, off offset:176
	v_or_b32_e32 v3, 1, v1
	s_delay_alu instid0(VALU_DEP_1) | instskip(NEXT) | instid1(VALU_DEP_1)
	v_cmp_gt_i32_e64 s1, s72, v3
	s_and_b32 s2, s1, s0
	s_and_b32 s1, s1, vcc_lo
	s_waitcnt vmcnt(1)
	v_cndmask_b32_e64 v13, 0, v8, s2
	scratch_load_b128 v[8:11], off, off offset:192
	v_lshrrev_b32_e32 v14, 8, v13
	v_lshrrev_b32_e32 v15, 16, v13
	;; [unrolled: 1-line block ×3, first 2 shown]
	s_waitcnt vmcnt(1)
	v_add_nc_u16 v4, v13, v4
	v_add_nc_u32_e32 v13, s3, v12
	v_add_nc_u16 v5, v14, v5
	v_add_nc_u16 v6, v15, v6
	;; [unrolled: 1-line block ×3, first 2 shown]
	v_bfe_i32 v4, v4, 0, 8
	s_delay_alu instid0(VALU_DEP_4) | instskip(NEXT) | instid1(VALU_DEP_4)
	v_bfe_i32 v5, v5, 0, 8
	v_bfe_i32 v6, v6, 0, 8
	s_delay_alu instid0(VALU_DEP_4) | instskip(NEXT) | instid1(VALU_DEP_4)
	v_bfe_i32 v7, v7, 0, 8
	v_max_i16 v4, v4, 0
	s_delay_alu instid0(VALU_DEP_4) | instskip(NEXT) | instid1(VALU_DEP_4)
	v_max_i16 v5, v5, 0
	v_max_i16 v6, v6, 0
	s_delay_alu instid0(VALU_DEP_4) | instskip(NEXT) | instid1(VALU_DEP_4)
	v_max_i16 v7, v7, 0
	v_and_b32_e32 v4, 0xffff, v4
	s_delay_alu instid0(VALU_DEP_4) | instskip(NEXT) | instid1(VALU_DEP_4)
	v_and_b32_e32 v5, 0xffff, v5
	v_and_b32_e32 v6, 0xffff, v6
	s_delay_alu instid0(VALU_DEP_4)
	v_and_b32_e32 v7, 0xffff, v7
	scratch_store_b128 off, v[4:7], off offset:176
	buffer_load_b32 v4, v13, s[24:27], 0 offen
	v_add_nc_u32_e32 v13, s56, v12
	s_waitcnt vmcnt(0)
	v_cndmask_b32_e64 v4, 0, v4, s1
	s_delay_alu instid0(VALU_DEP_1) | instskip(SKIP_3) | instid1(VALU_DEP_4)
	v_lshrrev_b32_e32 v5, 8, v4
	v_lshrrev_b32_e32 v6, 16, v4
	v_lshrrev_b32_e32 v7, 24, v4
	v_add_nc_u16 v4, v4, v8
	v_add_nc_u16 v5, v5, v9
	s_delay_alu instid0(VALU_DEP_4) | instskip(NEXT) | instid1(VALU_DEP_4)
	v_add_nc_u16 v6, v6, v10
	v_add_nc_u16 v7, v7, v11
	s_delay_alu instid0(VALU_DEP_4) | instskip(NEXT) | instid1(VALU_DEP_4)
	v_bfe_i32 v4, v4, 0, 8
	v_bfe_i32 v5, v5, 0, 8
	s_delay_alu instid0(VALU_DEP_4) | instskip(NEXT) | instid1(VALU_DEP_4)
	v_bfe_i32 v6, v6, 0, 8
	v_bfe_i32 v7, v7, 0, 8
	s_delay_alu instid0(VALU_DEP_4) | instskip(NEXT) | instid1(VALU_DEP_4)
	v_max_i16 v4, v4, 0
	v_max_i16 v5, v5, 0
	s_delay_alu instid0(VALU_DEP_4) | instskip(NEXT) | instid1(VALU_DEP_4)
	v_max_i16 v6, v6, 0
	v_max_i16 v7, v7, 0
	s_delay_alu instid0(VALU_DEP_4) | instskip(NEXT) | instid1(VALU_DEP_4)
	v_and_b32_e32 v4, 0xffff, v4
	v_and_b32_e32 v5, 0xffff, v5
	s_delay_alu instid0(VALU_DEP_4) | instskip(NEXT) | instid1(VALU_DEP_4)
	v_and_b32_e32 v6, 0xffff, v6
	v_and_b32_e32 v7, 0xffff, v7
	scratch_store_b128 off, v[4:7], off offset:192
	buffer_load_b32 v9, v13, s[24:27], 0 offen
	scratch_load_b128 v[5:8], off, off offset:208
	v_or_b32_e32 v4, 2, v1
	s_delay_alu instid0(VALU_DEP_1) | instskip(NEXT) | instid1(VALU_DEP_1)
	v_cmp_gt_i32_e64 s1, s72, v4
	s_and_b32 s2, s1, s0
	s_and_b32 s1, s1, vcc_lo
	s_waitcnt vmcnt(1)
	v_cndmask_b32_e64 v14, 0, v9, s2
	scratch_load_b128 v[9:12], off, off offset:224
	v_lshrrev_b32_e32 v15, 8, v14
	v_lshrrev_b32_e32 v16, 16, v14
	;; [unrolled: 1-line block ×3, first 2 shown]
	s_waitcnt vmcnt(1)
	v_add_nc_u16 v5, v14, v5
	v_add_nc_u32_e32 v14, s3, v13
	v_add_nc_u16 v6, v15, v6
	v_add_nc_u16 v7, v16, v7
	;; [unrolled: 1-line block ×3, first 2 shown]
	v_bfe_i32 v5, v5, 0, 8
	s_delay_alu instid0(VALU_DEP_4) | instskip(NEXT) | instid1(VALU_DEP_4)
	v_bfe_i32 v6, v6, 0, 8
	v_bfe_i32 v7, v7, 0, 8
	s_delay_alu instid0(VALU_DEP_4) | instskip(NEXT) | instid1(VALU_DEP_4)
	v_bfe_i32 v8, v8, 0, 8
	v_max_i16 v5, v5, 0
	s_delay_alu instid0(VALU_DEP_4) | instskip(NEXT) | instid1(VALU_DEP_4)
	v_max_i16 v6, v6, 0
	v_max_i16 v7, v7, 0
	s_delay_alu instid0(VALU_DEP_4) | instskip(NEXT) | instid1(VALU_DEP_4)
	v_max_i16 v8, v8, 0
	v_and_b32_e32 v5, 0xffff, v5
	s_delay_alu instid0(VALU_DEP_4) | instskip(NEXT) | instid1(VALU_DEP_4)
	v_and_b32_e32 v6, 0xffff, v6
	v_and_b32_e32 v7, 0xffff, v7
	s_delay_alu instid0(VALU_DEP_4)
	v_and_b32_e32 v8, 0xffff, v8
	scratch_store_b128 off, v[5:8], off offset:208
	buffer_load_b32 v5, v14, s[24:27], 0 offen
	v_add_nc_u32_e32 v14, s56, v13
	s_waitcnt vmcnt(0)
	v_cndmask_b32_e64 v5, 0, v5, s1
	s_delay_alu instid0(VALU_DEP_1) | instskip(SKIP_3) | instid1(VALU_DEP_4)
	v_lshrrev_b32_e32 v6, 8, v5
	v_lshrrev_b32_e32 v7, 16, v5
	;; [unrolled: 1-line block ×3, first 2 shown]
	v_add_nc_u16 v5, v5, v9
	v_add_nc_u16 v6, v6, v10
	s_delay_alu instid0(VALU_DEP_4) | instskip(NEXT) | instid1(VALU_DEP_4)
	v_add_nc_u16 v7, v7, v11
	v_add_nc_u16 v8, v8, v12
	s_delay_alu instid0(VALU_DEP_4) | instskip(NEXT) | instid1(VALU_DEP_4)
	v_bfe_i32 v5, v5, 0, 8
	v_bfe_i32 v6, v6, 0, 8
	s_delay_alu instid0(VALU_DEP_4) | instskip(NEXT) | instid1(VALU_DEP_4)
	v_bfe_i32 v7, v7, 0, 8
	v_bfe_i32 v8, v8, 0, 8
	s_delay_alu instid0(VALU_DEP_4) | instskip(NEXT) | instid1(VALU_DEP_4)
	v_max_i16 v5, v5, 0
	v_max_i16 v6, v6, 0
	s_delay_alu instid0(VALU_DEP_4) | instskip(NEXT) | instid1(VALU_DEP_4)
	v_max_i16 v7, v7, 0
	v_max_i16 v8, v8, 0
	s_delay_alu instid0(VALU_DEP_4) | instskip(NEXT) | instid1(VALU_DEP_4)
	v_and_b32_e32 v5, 0xffff, v5
	v_and_b32_e32 v6, 0xffff, v6
	s_delay_alu instid0(VALU_DEP_4) | instskip(NEXT) | instid1(VALU_DEP_4)
	v_and_b32_e32 v7, 0xffff, v7
	v_and_b32_e32 v8, 0xffff, v8
	scratch_store_b128 off, v[5:8], off offset:224
	buffer_load_b32 v10, v14, s[24:27], 0 offen
	scratch_load_b128 v[6:9], off, off offset:240
	v_or_b32_e32 v5, 3, v1
	s_delay_alu instid0(VALU_DEP_1) | instskip(SKIP_1) | instid1(VALU_DEP_2)
	v_cmp_gt_i32_e64 s1, s72, v5
	v_cmp_gt_i32_e64 s4, s33, v5
	s_and_b32 s2, s1, s0
	s_and_b32 s1, s1, vcc_lo
	s_waitcnt vmcnt(1)
	v_cndmask_b32_e64 v15, 0, v10, s2
	scratch_load_b128 v[10:13], off, off offset:256
	v_lshrrev_b32_e32 v16, 8, v15
	v_lshrrev_b32_e32 v17, 16, v15
	;; [unrolled: 1-line block ×3, first 2 shown]
	s_waitcnt vmcnt(1)
	v_add_nc_u16 v6, v15, v6
	v_add_nc_u32_e32 v15, s3, v14
	v_add_nc_u16 v7, v16, v7
	v_add_nc_u16 v8, v17, v8
	;; [unrolled: 1-line block ×3, first 2 shown]
	v_bfe_i32 v6, v6, 0, 8
	s_delay_alu instid0(VALU_DEP_4) | instskip(NEXT) | instid1(VALU_DEP_4)
	v_bfe_i32 v7, v7, 0, 8
	v_bfe_i32 v8, v8, 0, 8
	s_delay_alu instid0(VALU_DEP_4) | instskip(NEXT) | instid1(VALU_DEP_4)
	v_bfe_i32 v9, v9, 0, 8
	v_max_i16 v6, v6, 0
	s_delay_alu instid0(VALU_DEP_4) | instskip(NEXT) | instid1(VALU_DEP_4)
	v_max_i16 v7, v7, 0
	v_max_i16 v8, v8, 0
	s_delay_alu instid0(VALU_DEP_4) | instskip(NEXT) | instid1(VALU_DEP_4)
	v_max_i16 v9, v9, 0
	v_and_b32_e32 v6, 0xffff, v6
	s_delay_alu instid0(VALU_DEP_4) | instskip(NEXT) | instid1(VALU_DEP_4)
	v_and_b32_e32 v7, 0xffff, v7
	v_and_b32_e32 v8, 0xffff, v8
	s_delay_alu instid0(VALU_DEP_4)
	v_and_b32_e32 v9, 0xffff, v9
	scratch_store_b128 off, v[6:9], off offset:240
	buffer_load_b32 v6, v15, s[24:27], 0 offen
	v_mad_u64_u32 v[15:16], null, s56, 61, v[14:15]
	s_waitcnt vmcnt(0)
	v_cndmask_b32_e64 v6, 0, v6, s1
	s_delay_alu instid0(VALU_DEP_1) | instskip(SKIP_3) | instid1(VALU_DEP_4)
	v_lshrrev_b32_e32 v7, 8, v6
	v_lshrrev_b32_e32 v8, 16, v6
	;; [unrolled: 1-line block ×3, first 2 shown]
	v_add_nc_u16 v6, v6, v10
	v_add_nc_u16 v7, v7, v11
	s_delay_alu instid0(VALU_DEP_4) | instskip(NEXT) | instid1(VALU_DEP_4)
	v_add_nc_u16 v8, v8, v12
	v_add_nc_u16 v9, v9, v13
	s_delay_alu instid0(VALU_DEP_4) | instskip(NEXT) | instid1(VALU_DEP_4)
	v_bfe_i32 v6, v6, 0, 8
	v_bfe_i32 v7, v7, 0, 8
	s_delay_alu instid0(VALU_DEP_4) | instskip(NEXT) | instid1(VALU_DEP_4)
	v_bfe_i32 v8, v8, 0, 8
	v_bfe_i32 v9, v9, 0, 8
	s_delay_alu instid0(VALU_DEP_4) | instskip(NEXT) | instid1(VALU_DEP_4)
	v_max_i16 v6, v6, 0
	v_max_i16 v7, v7, 0
	s_delay_alu instid0(VALU_DEP_4) | instskip(NEXT) | instid1(VALU_DEP_4)
	v_max_i16 v8, v8, 0
	v_max_i16 v9, v9, 0
	s_delay_alu instid0(VALU_DEP_4) | instskip(NEXT) | instid1(VALU_DEP_4)
	v_and_b32_e32 v6, 0xffff, v6
	v_and_b32_e32 v7, 0xffff, v7
	s_delay_alu instid0(VALU_DEP_4) | instskip(NEXT) | instid1(VALU_DEP_4)
	v_and_b32_e32 v8, 0xffff, v8
	v_and_b32_e32 v9, 0xffff, v9
	scratch_store_b128 off, v[6:9], off offset:256
	buffer_load_b32 v11, v15, s[24:27], 0 offen
	scratch_load_b128 v[7:10], off, off offset:272
	v_add_nc_u32_e32 v6, 64, v1
	s_delay_alu instid0(VALU_DEP_1) | instskip(SKIP_1) | instid1(VALU_DEP_2)
	v_cmp_gt_i32_e64 s1, s72, v6
	v_cmp_gt_i32_e64 s11, s33, v6
	s_and_b32 s2, s1, s0
	s_and_b32 s1, s1, vcc_lo
	s_waitcnt vmcnt(1)
	v_cndmask_b32_e64 v16, 0, v11, s2
	scratch_load_b128 v[11:14], off, off offset:288
	v_lshrrev_b32_e32 v17, 8, v16
	v_lshrrev_b32_e32 v18, 16, v16
	;; [unrolled: 1-line block ×3, first 2 shown]
	s_waitcnt vmcnt(1)
	v_add_nc_u16 v7, v16, v7
	v_add_nc_u32_e32 v16, s3, v15
	v_add_nc_u16 v8, v17, v8
	v_add_nc_u16 v9, v18, v9
	v_add_nc_u16 v10, v19, v10
	v_bfe_i32 v7, v7, 0, 8
	s_delay_alu instid0(VALU_DEP_4) | instskip(NEXT) | instid1(VALU_DEP_4)
	v_bfe_i32 v8, v8, 0, 8
	v_bfe_i32 v9, v9, 0, 8
	s_delay_alu instid0(VALU_DEP_4) | instskip(NEXT) | instid1(VALU_DEP_4)
	v_bfe_i32 v10, v10, 0, 8
	v_max_i16 v7, v7, 0
	s_delay_alu instid0(VALU_DEP_4) | instskip(NEXT) | instid1(VALU_DEP_4)
	v_max_i16 v8, v8, 0
	v_max_i16 v9, v9, 0
	s_delay_alu instid0(VALU_DEP_4) | instskip(NEXT) | instid1(VALU_DEP_4)
	v_max_i16 v10, v10, 0
	v_and_b32_e32 v7, 0xffff, v7
	s_delay_alu instid0(VALU_DEP_4) | instskip(NEXT) | instid1(VALU_DEP_4)
	v_and_b32_e32 v8, 0xffff, v8
	v_and_b32_e32 v9, 0xffff, v9
	s_delay_alu instid0(VALU_DEP_4)
	v_and_b32_e32 v10, 0xffff, v10
	scratch_store_b128 off, v[7:10], off offset:272
	buffer_load_b32 v7, v16, s[24:27], 0 offen
	v_add_nc_u32_e32 v16, s56, v15
	s_waitcnt vmcnt(0)
	v_cndmask_b32_e64 v7, 0, v7, s1
	s_delay_alu instid0(VALU_DEP_1) | instskip(SKIP_3) | instid1(VALU_DEP_4)
	v_lshrrev_b32_e32 v8, 8, v7
	v_lshrrev_b32_e32 v9, 16, v7
	;; [unrolled: 1-line block ×3, first 2 shown]
	v_add_nc_u16 v7, v7, v11
	v_add_nc_u16 v8, v8, v12
	s_delay_alu instid0(VALU_DEP_4) | instskip(NEXT) | instid1(VALU_DEP_4)
	v_add_nc_u16 v9, v9, v13
	v_add_nc_u16 v10, v10, v14
	s_delay_alu instid0(VALU_DEP_4) | instskip(NEXT) | instid1(VALU_DEP_4)
	v_bfe_i32 v7, v7, 0, 8
	v_bfe_i32 v8, v8, 0, 8
	s_delay_alu instid0(VALU_DEP_4) | instskip(NEXT) | instid1(VALU_DEP_4)
	v_bfe_i32 v9, v9, 0, 8
	v_bfe_i32 v10, v10, 0, 8
	s_delay_alu instid0(VALU_DEP_4) | instskip(NEXT) | instid1(VALU_DEP_4)
	v_max_i16 v7, v7, 0
	v_max_i16 v8, v8, 0
	s_delay_alu instid0(VALU_DEP_4) | instskip(NEXT) | instid1(VALU_DEP_4)
	v_max_i16 v9, v9, 0
	v_max_i16 v10, v10, 0
	s_delay_alu instid0(VALU_DEP_4) | instskip(NEXT) | instid1(VALU_DEP_4)
	v_and_b32_e32 v7, 0xffff, v7
	v_and_b32_e32 v8, 0xffff, v8
	s_delay_alu instid0(VALU_DEP_4) | instskip(NEXT) | instid1(VALU_DEP_4)
	v_and_b32_e32 v9, 0xffff, v9
	v_and_b32_e32 v10, 0xffff, v10
	scratch_store_b128 off, v[7:10], off offset:288
	buffer_load_b32 v12, v16, s[24:27], 0 offen
	scratch_load_b128 v[8:11], off, off offset:304
	v_add_nc_u32_e32 v7, 0x41, v1
	s_delay_alu instid0(VALU_DEP_1) | instskip(SKIP_2) | instid1(VALU_DEP_3)
	v_cmp_gt_i32_e64 s1, s72, v7
	v_cmp_gt_i32_e64 s9, s33, v7
	v_cmp_ge_i32_e64 s10, s33, v7
	s_and_b32 s2, s1, s0
	s_and_b32 s1, s1, vcc_lo
	s_waitcnt vmcnt(1)
	v_cndmask_b32_e64 v17, 0, v12, s2
	scratch_load_b128 v[12:15], off, off offset:320
	v_lshrrev_b32_e32 v18, 8, v17
	v_lshrrev_b32_e32 v19, 16, v17
	;; [unrolled: 1-line block ×3, first 2 shown]
	s_waitcnt vmcnt(1)
	v_add_nc_u16 v8, v17, v8
	v_add_nc_u32_e32 v17, s3, v16
	v_add_nc_u16 v9, v18, v9
	v_add_nc_u16 v10, v19, v10
	;; [unrolled: 1-line block ×3, first 2 shown]
	v_bfe_i32 v8, v8, 0, 8
	v_add_nc_u32_e32 v16, s56, v16
	v_bfe_i32 v9, v9, 0, 8
	v_bfe_i32 v10, v10, 0, 8
	;; [unrolled: 1-line block ×3, first 2 shown]
	v_max_i16 v8, v8, 0
	s_delay_alu instid0(VALU_DEP_4) | instskip(NEXT) | instid1(VALU_DEP_4)
	v_max_i16 v9, v9, 0
	v_max_i16 v10, v10, 0
	s_delay_alu instid0(VALU_DEP_4) | instskip(NEXT) | instid1(VALU_DEP_4)
	v_max_i16 v11, v11, 0
	v_and_b32_e32 v8, 0xffff, v8
	s_delay_alu instid0(VALU_DEP_4) | instskip(NEXT) | instid1(VALU_DEP_4)
	v_and_b32_e32 v9, 0xffff, v9
	v_and_b32_e32 v10, 0xffff, v10
	s_delay_alu instid0(VALU_DEP_4)
	v_and_b32_e32 v11, 0xffff, v11
	scratch_store_b128 off, v[8:11], off offset:304
	buffer_load_b32 v8, v17, s[24:27], 0 offen
	s_waitcnt vmcnt(0)
	v_cndmask_b32_e64 v8, 0, v8, s1
	v_cmp_gt_i32_e64 s1, s72, v72
	s_delay_alu instid0(VALU_DEP_2)
	v_lshrrev_b32_e32 v9, 8, v8
	v_lshrrev_b32_e32 v10, 16, v8
	;; [unrolled: 1-line block ×3, first 2 shown]
	v_add_nc_u16 v8, v8, v12
	s_and_b32 s2, s1, s0
	v_add_nc_u16 v9, v9, v13
	v_add_nc_u16 v10, v10, v14
	;; [unrolled: 1-line block ×3, first 2 shown]
	v_bfe_i32 v8, v8, 0, 8
	s_and_b32 s1, s1, vcc_lo
	v_bfe_i32 v9, v9, 0, 8
	v_bfe_i32 v10, v10, 0, 8
	;; [unrolled: 1-line block ×3, first 2 shown]
	v_max_i16 v8, v8, 0
	s_delay_alu instid0(VALU_DEP_4) | instskip(NEXT) | instid1(VALU_DEP_4)
	v_max_i16 v9, v9, 0
	v_max_i16 v10, v10, 0
	s_delay_alu instid0(VALU_DEP_4) | instskip(NEXT) | instid1(VALU_DEP_4)
	v_max_i16 v11, v11, 0
	v_and_b32_e32 v8, 0xffff, v8
	s_delay_alu instid0(VALU_DEP_4) | instskip(NEXT) | instid1(VALU_DEP_4)
	v_and_b32_e32 v9, 0xffff, v9
	v_and_b32_e32 v10, 0xffff, v10
	s_delay_alu instid0(VALU_DEP_4)
	v_and_b32_e32 v11, 0xffff, v11
	scratch_store_b128 off, v[8:11], off offset:320
	buffer_load_b32 v12, v16, s[24:27], 0 offen
	scratch_load_b128 v[8:11], off, off offset:336
	s_waitcnt vmcnt(1)
	v_cndmask_b32_e64 v17, 0, v12, s2
	scratch_load_b128 v[12:15], off, off offset:352
	v_cmp_gt_i32_e64 s2, s33, v3
	v_lshrrev_b32_e32 v18, 8, v17
	v_lshrrev_b32_e32 v19, 16, v17
	;; [unrolled: 1-line block ×3, first 2 shown]
	s_waitcnt vmcnt(1)
	v_add_nc_u16 v8, v17, v8
	v_add_nc_u32_e32 v17, s3, v16
	v_add_nc_u16 v9, v18, v9
	v_add_nc_u16 v10, v19, v10
	;; [unrolled: 1-line block ×3, first 2 shown]
	v_bfe_i32 v8, v8, 0, 8
	v_add_nc_u32_e32 v16, s56, v16
	v_bfe_i32 v9, v9, 0, 8
	v_bfe_i32 v10, v10, 0, 8
	;; [unrolled: 1-line block ×3, first 2 shown]
	v_max_i16 v8, v8, 0
	s_delay_alu instid0(VALU_DEP_4) | instskip(NEXT) | instid1(VALU_DEP_4)
	v_max_i16 v9, v9, 0
	v_max_i16 v10, v10, 0
	s_delay_alu instid0(VALU_DEP_4) | instskip(NEXT) | instid1(VALU_DEP_4)
	v_max_i16 v11, v11, 0
	v_and_b32_e32 v8, 0xffff, v8
	s_delay_alu instid0(VALU_DEP_4) | instskip(NEXT) | instid1(VALU_DEP_4)
	v_and_b32_e32 v9, 0xffff, v9
	v_and_b32_e32 v10, 0xffff, v10
	s_delay_alu instid0(VALU_DEP_4)
	v_and_b32_e32 v11, 0xffff, v11
	scratch_store_b128 off, v[8:11], off offset:336
	buffer_load_b32 v8, v17, s[24:27], 0 offen
	s_waitcnt vmcnt(0)
	v_cndmask_b32_e64 v8, 0, v8, s1
	v_cmp_gt_i32_e64 s1, s72, v73
	s_delay_alu instid0(VALU_DEP_2)
	v_lshrrev_b32_e32 v9, 8, v8
	v_lshrrev_b32_e32 v10, 16, v8
	;; [unrolled: 1-line block ×3, first 2 shown]
	v_add_nc_u16 v8, v8, v12
	s_and_b32 s0, s1, s0
	v_add_nc_u16 v9, v9, v13
	v_add_nc_u16 v10, v10, v14
	;; [unrolled: 1-line block ×3, first 2 shown]
	v_bfe_i32 v8, v8, 0, 8
	s_and_b32 vcc_lo, s1, vcc_lo
	v_bfe_i32 v9, v9, 0, 8
	v_bfe_i32 v10, v10, 0, 8
	v_bfe_i32 v11, v11, 0, 8
	v_max_i16 v8, v8, 0
	s_delay_alu instid0(VALU_DEP_4) | instskip(NEXT) | instid1(VALU_DEP_4)
	v_max_i16 v9, v9, 0
	v_max_i16 v10, v10, 0
	s_delay_alu instid0(VALU_DEP_4) | instskip(NEXT) | instid1(VALU_DEP_4)
	v_max_i16 v11, v11, 0
	v_and_b32_e32 v8, 0xffff, v8
	s_delay_alu instid0(VALU_DEP_4) | instskip(NEXT) | instid1(VALU_DEP_4)
	v_and_b32_e32 v9, 0xffff, v9
	v_and_b32_e32 v10, 0xffff, v10
	s_delay_alu instid0(VALU_DEP_4)
	v_and_b32_e32 v11, 0xffff, v11
	scratch_store_b128 off, v[8:11], off offset:352
	buffer_load_b32 v12, v16, s[24:27], 0 offen
	scratch_load_b128 v[8:11], off, off offset:368
	v_add_nc_u32_e32 v16, s3, v16
	v_cmp_gt_i32_e64 s3, s33, v4
	s_waitcnt vmcnt(1)
	v_cndmask_b32_e64 v17, 0, v12, s0
	scratch_load_b128 v[12:15], off, off offset:384
	v_cmp_gt_i32_e64 s0, s33, v1
	v_mul_lo_u32 v1, v1, s34
	v_lshrrev_b32_e32 v18, 8, v17
	v_lshrrev_b32_e32 v19, 16, v17
	;; [unrolled: 1-line block ×3, first 2 shown]
	s_waitcnt vmcnt(1)
	v_add_nc_u16 v8, v17, v8
	v_add_nc_u16 v9, v18, v9
	;; [unrolled: 1-line block ×4, first 2 shown]
	s_delay_alu instid0(VALU_DEP_4) | instskip(NEXT) | instid1(VALU_DEP_4)
	v_bfe_i32 v8, v8, 0, 8
	v_bfe_i32 v9, v9, 0, 8
	s_delay_alu instid0(VALU_DEP_4) | instskip(NEXT) | instid1(VALU_DEP_4)
	v_bfe_i32 v10, v10, 0, 8
	v_bfe_i32 v11, v11, 0, 8
	s_delay_alu instid0(VALU_DEP_4) | instskip(NEXT) | instid1(VALU_DEP_4)
	v_max_i16 v8, v8, 0
	v_max_i16 v9, v9, 0
	s_delay_alu instid0(VALU_DEP_4) | instskip(NEXT) | instid1(VALU_DEP_4)
	v_max_i16 v10, v10, 0
	v_max_i16 v11, v11, 0
	s_delay_alu instid0(VALU_DEP_4) | instskip(NEXT) | instid1(VALU_DEP_4)
	v_and_b32_e32 v8, 0xffff, v8
	v_and_b32_e32 v9, 0xffff, v9
	s_delay_alu instid0(VALU_DEP_4) | instskip(NEXT) | instid1(VALU_DEP_4)
	v_and_b32_e32 v10, 0xffff, v10
	v_and_b32_e32 v11, 0xffff, v11
	scratch_store_b128 off, v[8:11], off offset:368
	buffer_load_b32 v52, v16, s[24:27], 0 offen
	s_clause 0x9
	scratch_load_b128 v[8:11], off, off offset:144
	scratch_load_b128 v[16:19], off, off offset:160
	scratch_load_b128 v[20:23], off, off offset:192
	scratch_load_b128 v[24:27], off, off offset:176
	scratch_load_b128 v[28:31], off, off offset:208
	scratch_load_b128 v[32:35], off, off offset:224
	scratch_load_b128 v[36:39], off, off offset:256
	scratch_load_b128 v[40:43], off, off offset:240
	scratch_load_b128 v[44:47], off, off offset:288
	scratch_load_b128 v[48:51], off, off offset:272
	s_waitcnt vmcnt(9)
	v_lshlrev_b32_e32 v9, 8, v9
	v_lshlrev_b32_e32 v10, 16, v10
	s_waitcnt vmcnt(8)
	v_lshlrev_b32_e32 v17, 8, v17
	v_lshlrev_b32_e32 v18, 16, v18
	;; [unrolled: 1-line block ×3, first 2 shown]
	v_perm_b32 v8, v9, v8, 0xc0c0500
	v_and_b32_e32 v9, 0xff0000, v10
	v_lshlrev_b32_e32 v10, 24, v19
	v_cndmask_b32_e32 v60, 0, v52, vcc_lo
	s_clause 0x1
	scratch_load_b128 v[52:55], off, off offset:304
	scratch_load_b128 v[56:59], off, off offset:320
	v_cmp_gt_i32_e32 vcc_lo, s36, v0
	v_perm_b32 v16, v17, v16, 0xc0c0500
	v_and_b32_e32 v17, 0xff0000, v18
	v_lshrrev_b32_e32 v61, 8, v60
	v_lshrrev_b32_e32 v62, 16, v60
	;; [unrolled: 1-line block ×3, first 2 shown]
	v_add_nc_u16 v64, v60, v12
	s_and_b32 s1, s0, vcc_lo
	v_add_nc_u16 v65, v61, v13
	v_add_nc_u16 v66, v62, v14
	;; [unrolled: 1-line block ×3, first 2 shown]
	v_bfe_i32 v64, v64, 0, 8
	s_clause 0x1
	scratch_load_b128 v[12:15], off, off offset:352
	scratch_load_b128 v[60:63], off, off offset:336
	v_bfe_i32 v65, v65, 0, 8
	v_bfe_i32 v66, v66, 0, 8
	;; [unrolled: 1-line block ×3, first 2 shown]
	v_max_i16 v64, v64, 0
	scratch_load_b128 v[68:71], off, off offset:368
	v_max_i16 v65, v65, 0
	v_max_i16 v66, v66, 0
	;; [unrolled: 1-line block ×3, first 2 shown]
	v_and_b32_e32 v64, 0xffff, v64
	v_cndmask_b32_e64 v74, 0x80000000, 0, s1
	v_and_b32_e32 v65, 0xffff, v65
	v_and_b32_e32 v66, 0xffff, v66
	;; [unrolled: 1-line block ×3, first 2 shown]
	v_cmp_gt_i32_e64 s1, s36, v2
	v_mad_u64_u32 v[2:3], null, v0, s35, v[1:2]
	v_or3_b32 v8, v8, v9, v11
	scratch_store_b128 off, v[64:67], off offset:384
	scratch_load_b128 v[64:67], off, off offset:384
	v_or3_b32 v9, v16, v17, v10
	s_waitcnt vmcnt(13)
	v_lshlrev_b32_e32 v10, 8, v21
	v_lshlrev_b32_e32 v16, 24, v23
	v_add_nc_u32_e32 v3, s12, v2
	s_waitcnt vmcnt(12)
	v_lshlrev_b32_e32 v17, 8, v25
	v_lshlrev_b32_e32 v21, 16, v26
	v_perm_b32 v10, v10, v20, 0xc0c0500
	s_waitcnt vmcnt(11)
	v_lshlrev_b32_e32 v20, 8, v29
	v_add_nc_u32_e32 v6, s34, v3
	v_lshlrev_b32_e32 v23, 16, v30
	s_and_b32 s0, s0, s1
	v_lshlrev_b32_e32 v11, 16, v22
	v_cndmask_b32_e64 v0, 0x80000000, 0, s0
	v_add_nc_u32_e32 v73, s34, v6
	s_and_b32 s0, s2, s1
	v_lshlrev_b32_e32 v22, 24, v27
	v_perm_b32 v17, v17, v24, 0xc0c0500
	v_and_b32_e32 v21, 0xff0000, v21
	v_add_nc_u32_e32 v77, s34, v73
	v_lshlrev_b32_e32 v24, 24, v31
	v_perm_b32 v20, v20, v28, 0xc0c0500
	v_and_b32_e32 v23, 0xff0000, v23
	v_cndmask_b32_e64 v1, 0x80000000, 0, s0
	v_subrev_nc_u32_e32 v80, s12, v77
	s_and_b32 s0, s2, vcc_lo
	v_and_b32_e32 v11, 0xff0000, v11
	v_cndmask_b32_e64 v4, 0x80000000, 0, s0
	s_and_b32 s0, s3, vcc_lo
	v_lshl_add_u32 v83, s14, 6, v80
	v_cndmask_b32_e64 v5, 0x80000000, 0, s0
	s_and_b32 s0, s3, s1
	v_or3_b32 v17, v17, v21, v22
	v_or3_b32 v20, v20, v23, v24
	s_waitcnt vmcnt(9)
	v_lshlrev_b32_e32 v22, 8, v37
	v_lshlrev_b32_e32 v23, 16, v38
	v_cndmask_b32_e64 v7, 0x80000000, 0, s0
	s_and_b32 s0, s4, s1
	v_or3_b32 v10, v10, v11, v16
	v_cndmask_b32_e64 v72, 0x80000000, 0, s0
	s_and_b32 s0, s4, vcc_lo
	v_lshlrev_b32_e32 v11, 8, v33
	v_subrev_nc_u32_e32 v86, s34, v83
	v_lshlrev_b32_e32 v16, 16, v34
	v_lshlrev_b32_e32 v24, 24, v39
	v_perm_b32 v22, v22, v36, 0xc0c0500
	v_and_b32_e32 v23, 0xff0000, v23
	v_cndmask_b32_e64 v75, 0x80000000, 0, s0
	s_and_b32 s0, s5, vcc_lo
	v_perm_b32 v11, v11, v32, 0xc0c0500
	v_cndmask_b32_e64 v76, 0x80000000, 0, s0
	s_and_b32 s0, s5, s1
	v_add_nc_u32_e32 v88, s34, v2
	v_cndmask_b32_e64 v78, 0x80000000, 0, s0
	s_and_b32 s0, s6, s1
	v_add_nc_u32_e32 v2, v74, v2
	v_subrev_nc_u32_e32 v74, s12, v86
	v_lshlrev_b32_e32 v21, 24, v35
	v_and_b32_e32 v16, 0xff0000, v16
	s_waitcnt vmcnt(8)
	v_lshlrev_b32_e32 v25, 8, v41
	v_lshlrev_b32_e32 v26, 16, v42
	v_or3_b32 v22, v22, v23, v24
	s_waitcnt vmcnt(7)
	v_lshlrev_b32_e32 v23, 8, v45
	v_lshlrev_b32_e32 v24, 16, v46
	v_cndmask_b32_e64 v79, 0x80000000, 0, s0
	s_and_b32 s0, s7, vcc_lo
	v_add_nc_u32_e32 v0, v0, v3
	v_cndmask_b32_e64 v81, 0x80000000, 0, s0
	s_and_b32 s0, s8, vcc_lo
	v_add_nc_u32_e32 v3, v88, v4
	v_add3_u32 v4, v5, s34, v88
	v_subrev_nc_u32_e32 v5, s34, v74
	v_or3_b32 v11, v11, v16, v21
	v_perm_b32 v21, v25, v40, 0xc0c0500
	v_and_b32_e32 v25, 0xff0000, v26
	v_lshlrev_b32_e32 v26, 24, v47
	v_perm_b32 v23, v23, v44, 0xc0c0500
	v_and_b32_e32 v24, 0xff0000, v24
	v_cndmask_b32_e64 v82, 0x80000000, 0, s0
	s_and_b32 s0, s9, s1
	s_clause 0x1
	buffer_store_b32 v8, v2, s[16:19], 0 offen
	buffer_store_b32 v9, v0, s[16:19], 0 offen
	v_cndmask_b32_e64 v84, 0x80000000, 0, s0
	s_and_b32 s0, s11, vcc_lo
	v_add_nc_u32_e32 v1, v1, v6
	v_cndmask_b32_e64 v85, 0x80000000, 0, s0
	v_add_nc_u32_e32 v6, v73, v7
	v_add_nc_u32_e32 v7, v77, v72
	;; [unrolled: 1-line block ×4, first 2 shown]
	v_lshlrev_b32_e32 v16, 24, v43
	s_waitcnt vmcnt(6)
	v_lshlrev_b32_e32 v27, 8, v49
	v_lshlrev_b32_e32 v28, 16, v50
	v_or3_b32 v23, v23, v24, v26
	s_and_b32 s0, s10, s1
	v_subrev_nc_u32_e32 v85, s12, v85
	v_cndmask_b32_e64 v87, 0x80000000, 0, s0
	v_add3_u32 v73, v76, s13, v80
	v_add_nc_u32_e32 v76, v83, v78
	v_subrev_nc_u32_e32 v78, s34, v75
	v_or3_b32 v16, v21, v25, v16
	v_lshlrev_b32_e32 v21, 24, v51
	v_perm_b32 v25, v27, v48, 0xc0c0500
	v_and_b32_e32 v27, 0xff0000, v28
	s_clause 0x2
	buffer_store_b32 v10, v1, s[16:19], 0 offen
	buffer_store_b32 v17, v3, s[16:19], 0 offen
	;; [unrolled: 1-line block ×3, first 2 shown]
	v_add_nc_u32_e32 v77, v86, v79
	v_add_nc_u32_e32 v74, v74, v81
	;; [unrolled: 1-line block ×6, first 2 shown]
	v_or3_b32 v21, v25, v27, v21
	s_waitcnt vmcnt(5)
	v_lshlrev_b32_e32 v24, 8, v53
	v_lshlrev_b32_e32 v26, 16, v54
	s_waitcnt vmcnt(4)
	v_lshlrev_b32_e32 v29, 8, v57
	v_lshlrev_b32_e32 v30, 16, v58
	;; [unrolled: 1-line block ×3, first 2 shown]
	v_perm_b32 v24, v24, v52, 0xc0c0500
	v_and_b32_e32 v26, 0xff0000, v26
	v_lshlrev_b32_e32 v31, 24, v59
	v_perm_b32 v29, v29, v56, 0xc0c0500
	v_and_b32_e32 v30, 0xff0000, v30
	s_delay_alu instid0(VALU_DEP_4)
	v_or3_b32 v24, v24, v26, v28
	s_waitcnt vmcnt(3)
	v_lshlrev_b32_e32 v13, 8, v13
	v_lshlrev_b32_e32 v14, 16, v14
	s_waitcnt vmcnt(2)
	v_lshlrev_b32_e32 v32, 8, v61
	v_lshlrev_b32_e32 v33, 16, v62
	;; [unrolled: 1-line block ×4, first 2 shown]
	v_perm_b32 v12, v13, v12, 0xc0c0500
	v_and_b32_e32 v13, 0xff0000, v14
	v_perm_b32 v14, v32, v60, 0xc0c0500
	v_and_b32_e32 v32, 0xff0000, v33
	s_waitcnt vmcnt(1)
	v_lshlrev_b32_e32 v0, 8, v69
	v_lshlrev_b32_e32 v2, 16, v70
	v_or3_b32 v12, v12, v13, v15
	v_lshlrev_b32_e32 v8, 24, v71
	v_or3_b32 v13, v14, v32, v34
	v_perm_b32 v0, v0, v68, 0xc0c0500
	v_and_b32_e32 v2, 0xff0000, v2
	v_or3_b32 v25, v29, v30, v31
	s_waitcnt vmcnt(0)
	v_lshlrev_b32_e32 v9, 8, v65
	v_lshlrev_b32_e32 v14, 16, v66
	;; [unrolled: 1-line block ×3, first 2 shown]
	v_or3_b32 v0, v0, v2, v8
	s_delay_alu instid0(VALU_DEP_4) | instskip(NEXT) | instid1(VALU_DEP_4)
	v_perm_b32 v9, v9, v64, 0xc0c0500
	v_and_b32_e32 v14, 0xff0000, v14
	s_delay_alu instid0(VALU_DEP_1)
	v_or3_b32 v1, v9, v14, v15
	s_clause 0xa
	buffer_store_b32 v11, v6, s[16:19], 0 offen
	buffer_store_b32 v22, v7, s[16:19], 0 offen
	;; [unrolled: 1-line block ×11, first 2 shown]
	s_endpgm
	.section	.rodata,"a",@progbits
	.p2align	6, 0x0
	.amdhsa_kernel _ZN2ck16tensor_operation6device12_GLOBAL__N_137kernel_grouped_conv_fwd_dl_multiple_dINS_32GridwiseGemmDlMultipleD_km_kn_mnILi256EaiNS_5TupleIJaEEEaNS0_12element_wise11PassThroughES8_NS7_7AddReluELNS_25InMemoryDataOperationEnumE0ENS_16TensorDescriptorINS5_IJNS_5EmbedINS5_IJiiiiEEESD_Lb0EEENS_11PassThroughIiEENS_3PadIiiiLb0EEESI_SG_SG_NSC_INS5_IJiiEEESJ_Lb0EEESK_SG_NS_23Merge_v2_magic_divisionINS5_IJiiiEEEEESN_NS_8RightPadIiiLb0EEESP_NS_7UnMergeISJ_Lb0EEESG_EEENS5_IJNS_8SequenceIJLi0EEEENST_IJLi1EEEENST_IJLi2EEEENST_IJLi3EEEENST_IJLi4EEEENST_IJLi5EEEENST_IJLi6EEEENST_IJLi7EEEENST_IJLi8EEEENST_IJLi9ELi11ELi13EEEENST_IJLi10ELi12ELi14EEEENST_IJLi15EEEENST_IJLi16EEEENST_IJLi18EEEENST_IJLi17EEEEEEENS5_IJNST_IJLi1ELi2ELi3ELi4EEEESZ_S10_S11_S12_NST_IJLi9EEEENST_IJLi10ELi11EEEENST_IJLi12ELi13EEEENST_IJLi14EEEES15_S16_S18_S17_NST_IJLi19ELi20EEEENST_IJLi21EEEEEEENST_IJLi19ELi21ELi20EEEElEENSB_INS5_IJSR_SP_SP_SR_SG_EEENS5_IJSU_SV_SW_SY_SX_EEENS5_IJNST_IJLi1ELi2EEEESX_SY_NST_IJLi5ELi6EEEES11_EEENST_IJLi5ELi7ELi6EEEElEENSB_INS5_IJSK_SP_SP_EEENS5_IJSU_SV_SW_EEENS5_IJS1M_SX_SY_EEENST_IJLi3ELi4EEEElEELi128ELi128ELi16ELi4ELi4ELi4ELi1ENST_IJLi8ELi2EEEES1W_NST_IJLi8ELi1ELi1ELi4EEEENST_IJLi2ELi1ELi128ELi1EEEENST_IJLi1ELi2ELi0ELi3EEEES1Z_NST_IJLi4ELi1ELi1ELi4EEEES1Z_NST_IJLi1ELi1ELi1ELi4EEEES1X_S1Y_S1Z_S1Z_S20_S1Z_S21_NST_IJLi0ELi1ELi2ELi3ELi4ELi5EEEELi5ELi4EEEaNS5_IJPKaEEEaS8_S8_S9_NSB_INS5_IJSE_SG_SI_SI_SG_SG_SK_SK_SG_SN_SN_SP_SP_SR_SG_SG_NSQ_INS5_IJiNS_17integral_constantIiLi128EEEEEELb0EEENSF_INS27_IiLi4EEEEEEEENS5_IJSU_SV_SW_SX_SY_SZ_S10_S11_S12_S13_S14_S15_S16_S17_S18_NST_IJLi19EEEES1G_NST_IJLi20EEEEEEENS5_IJS1A_SZ_S10_S11_S12_S1B_S1C_S1D_S1E_S15_S16_S18_S17_S1F_S1G_NST_IJLi22EEEENST_IJLi23ELi24EEEENST_IJLi25EEEEEEENST_IJLi22ELi23ELi24ELi25EEEElEENSB_INS5_IJSR_SP_SP_SR_SG_SG_S2A_S2C_EEENS5_IJSU_SV_SW_SY_SX_SZ_S11_S10_EEENS5_IJS1M_SX_SY_S1N_S11_S12_NST_IJLi9ELi10EEEENST_IJLi11EEEEEEENST_IJLi8ELi9ELi10ELi11EEEElEENS5_IJNSB_INS5_IJSK_SP_SP_NSQ_INS5_IJiNS27_IiLi2EEENS27_IiLi64EEEEEELb0EEES2X_EEENS5_IJSU_SV_SW_SX_SY_EEENS5_IJS1M_SX_SY_NST_IJLi5ELi6ELi7EEEENST_IJLi8ELi9ELi10EEEEEEENST_IJLi5ELi6ELi7ELi8ELi9ELi10EEEElEEEEES34_NS_31BlockToCTileMap_M00_N00_M01_N01ILi128ELi128ES1V_Lb0EEENS1_30ComputePtrOffsetOfStridedBatchILi1ELi1ELi1EvEELb1ELb1EEEvPKT0_S3C_T1_PT2_T3_T4_T5_iT6_T7_T8_T9_T10_T11_
		.amdhsa_group_segment_fixed_size 32768
		.amdhsa_private_segment_fixed_size 480
		.amdhsa_kernarg_size 968
		.amdhsa_user_sgpr_count 15
		.amdhsa_user_sgpr_dispatch_ptr 0
		.amdhsa_user_sgpr_queue_ptr 0
		.amdhsa_user_sgpr_kernarg_segment_ptr 1
		.amdhsa_user_sgpr_dispatch_id 0
		.amdhsa_user_sgpr_private_segment_size 0
		.amdhsa_wavefront_size32 1
		.amdhsa_uses_dynamic_stack 0
		.amdhsa_enable_private_segment 1
		.amdhsa_system_sgpr_workgroup_id_x 1
		.amdhsa_system_sgpr_workgroup_id_y 0
		.amdhsa_system_sgpr_workgroup_id_z 0
		.amdhsa_system_sgpr_workgroup_info 0
		.amdhsa_system_vgpr_workitem_id 0
		.amdhsa_next_free_vgpr 113
		.amdhsa_next_free_sgpr 92
		.amdhsa_reserve_vcc 1
		.amdhsa_float_round_mode_32 0
		.amdhsa_float_round_mode_16_64 0
		.amdhsa_float_denorm_mode_32 3
		.amdhsa_float_denorm_mode_16_64 3
		.amdhsa_dx10_clamp 1
		.amdhsa_ieee_mode 1
		.amdhsa_fp16_overflow 0
		.amdhsa_workgroup_processor_mode 1
		.amdhsa_memory_ordered 1
		.amdhsa_forward_progress 0
		.amdhsa_shared_vgpr_count 0
		.amdhsa_exception_fp_ieee_invalid_op 0
		.amdhsa_exception_fp_denorm_src 0
		.amdhsa_exception_fp_ieee_div_zero 0
		.amdhsa_exception_fp_ieee_overflow 0
		.amdhsa_exception_fp_ieee_underflow 0
		.amdhsa_exception_fp_ieee_inexact 0
		.amdhsa_exception_int_div_zero 0
	.end_amdhsa_kernel
	.section	.text._ZN2ck16tensor_operation6device12_GLOBAL__N_137kernel_grouped_conv_fwd_dl_multiple_dINS_32GridwiseGemmDlMultipleD_km_kn_mnILi256EaiNS_5TupleIJaEEEaNS0_12element_wise11PassThroughES8_NS7_7AddReluELNS_25InMemoryDataOperationEnumE0ENS_16TensorDescriptorINS5_IJNS_5EmbedINS5_IJiiiiEEESD_Lb0EEENS_11PassThroughIiEENS_3PadIiiiLb0EEESI_SG_SG_NSC_INS5_IJiiEEESJ_Lb0EEESK_SG_NS_23Merge_v2_magic_divisionINS5_IJiiiEEEEESN_NS_8RightPadIiiLb0EEESP_NS_7UnMergeISJ_Lb0EEESG_EEENS5_IJNS_8SequenceIJLi0EEEENST_IJLi1EEEENST_IJLi2EEEENST_IJLi3EEEENST_IJLi4EEEENST_IJLi5EEEENST_IJLi6EEEENST_IJLi7EEEENST_IJLi8EEEENST_IJLi9ELi11ELi13EEEENST_IJLi10ELi12ELi14EEEENST_IJLi15EEEENST_IJLi16EEEENST_IJLi18EEEENST_IJLi17EEEEEEENS5_IJNST_IJLi1ELi2ELi3ELi4EEEESZ_S10_S11_S12_NST_IJLi9EEEENST_IJLi10ELi11EEEENST_IJLi12ELi13EEEENST_IJLi14EEEES15_S16_S18_S17_NST_IJLi19ELi20EEEENST_IJLi21EEEEEEENST_IJLi19ELi21ELi20EEEElEENSB_INS5_IJSR_SP_SP_SR_SG_EEENS5_IJSU_SV_SW_SY_SX_EEENS5_IJNST_IJLi1ELi2EEEESX_SY_NST_IJLi5ELi6EEEES11_EEENST_IJLi5ELi7ELi6EEEElEENSB_INS5_IJSK_SP_SP_EEENS5_IJSU_SV_SW_EEENS5_IJS1M_SX_SY_EEENST_IJLi3ELi4EEEElEELi128ELi128ELi16ELi4ELi4ELi4ELi1ENST_IJLi8ELi2EEEES1W_NST_IJLi8ELi1ELi1ELi4EEEENST_IJLi2ELi1ELi128ELi1EEEENST_IJLi1ELi2ELi0ELi3EEEES1Z_NST_IJLi4ELi1ELi1ELi4EEEES1Z_NST_IJLi1ELi1ELi1ELi4EEEES1X_S1Y_S1Z_S1Z_S20_S1Z_S21_NST_IJLi0ELi1ELi2ELi3ELi4ELi5EEEELi5ELi4EEEaNS5_IJPKaEEEaS8_S8_S9_NSB_INS5_IJSE_SG_SI_SI_SG_SG_SK_SK_SG_SN_SN_SP_SP_SR_SG_SG_NSQ_INS5_IJiNS_17integral_constantIiLi128EEEEEELb0EEENSF_INS27_IiLi4EEEEEEEENS5_IJSU_SV_SW_SX_SY_SZ_S10_S11_S12_S13_S14_S15_S16_S17_S18_NST_IJLi19EEEES1G_NST_IJLi20EEEEEEENS5_IJS1A_SZ_S10_S11_S12_S1B_S1C_S1D_S1E_S15_S16_S18_S17_S1F_S1G_NST_IJLi22EEEENST_IJLi23ELi24EEEENST_IJLi25EEEEEEENST_IJLi22ELi23ELi24ELi25EEEElEENSB_INS5_IJSR_SP_SP_SR_SG_SG_S2A_S2C_EEENS5_IJSU_SV_SW_SY_SX_SZ_S11_S10_EEENS5_IJS1M_SX_SY_S1N_S11_S12_NST_IJLi9ELi10EEEENST_IJLi11EEEEEEENST_IJLi8ELi9ELi10ELi11EEEElEENS5_IJNSB_INS5_IJSK_SP_SP_NSQ_INS5_IJiNS27_IiLi2EEENS27_IiLi64EEEEEELb0EEES2X_EEENS5_IJSU_SV_SW_SX_SY_EEENS5_IJS1M_SX_SY_NST_IJLi5ELi6ELi7EEEENST_IJLi8ELi9ELi10EEEEEEENST_IJLi5ELi6ELi7ELi8ELi9ELi10EEEElEEEEES34_NS_31BlockToCTileMap_M00_N00_M01_N01ILi128ELi128ES1V_Lb0EEENS1_30ComputePtrOffsetOfStridedBatchILi1ELi1ELi1EvEELb1ELb1EEEvPKT0_S3C_T1_PT2_T3_T4_T5_iT6_T7_T8_T9_T10_T11_,"axG",@progbits,_ZN2ck16tensor_operation6device12_GLOBAL__N_137kernel_grouped_conv_fwd_dl_multiple_dINS_32GridwiseGemmDlMultipleD_km_kn_mnILi256EaiNS_5TupleIJaEEEaNS0_12element_wise11PassThroughES8_NS7_7AddReluELNS_25InMemoryDataOperationEnumE0ENS_16TensorDescriptorINS5_IJNS_5EmbedINS5_IJiiiiEEESD_Lb0EEENS_11PassThroughIiEENS_3PadIiiiLb0EEESI_SG_SG_NSC_INS5_IJiiEEESJ_Lb0EEESK_SG_NS_23Merge_v2_magic_divisionINS5_IJiiiEEEEESN_NS_8RightPadIiiLb0EEESP_NS_7UnMergeISJ_Lb0EEESG_EEENS5_IJNS_8SequenceIJLi0EEEENST_IJLi1EEEENST_IJLi2EEEENST_IJLi3EEEENST_IJLi4EEEENST_IJLi5EEEENST_IJLi6EEEENST_IJLi7EEEENST_IJLi8EEEENST_IJLi9ELi11ELi13EEEENST_IJLi10ELi12ELi14EEEENST_IJLi15EEEENST_IJLi16EEEENST_IJLi18EEEENST_IJLi17EEEEEEENS5_IJNST_IJLi1ELi2ELi3ELi4EEEESZ_S10_S11_S12_NST_IJLi9EEEENST_IJLi10ELi11EEEENST_IJLi12ELi13EEEENST_IJLi14EEEES15_S16_S18_S17_NST_IJLi19ELi20EEEENST_IJLi21EEEEEEENST_IJLi19ELi21ELi20EEEElEENSB_INS5_IJSR_SP_SP_SR_SG_EEENS5_IJSU_SV_SW_SY_SX_EEENS5_IJNST_IJLi1ELi2EEEESX_SY_NST_IJLi5ELi6EEEES11_EEENST_IJLi5ELi7ELi6EEEElEENSB_INS5_IJSK_SP_SP_EEENS5_IJSU_SV_SW_EEENS5_IJS1M_SX_SY_EEENST_IJLi3ELi4EEEElEELi128ELi128ELi16ELi4ELi4ELi4ELi1ENST_IJLi8ELi2EEEES1W_NST_IJLi8ELi1ELi1ELi4EEEENST_IJLi2ELi1ELi128ELi1EEEENST_IJLi1ELi2ELi0ELi3EEEES1Z_NST_IJLi4ELi1ELi1ELi4EEEES1Z_NST_IJLi1ELi1ELi1ELi4EEEES1X_S1Y_S1Z_S1Z_S20_S1Z_S21_NST_IJLi0ELi1ELi2ELi3ELi4ELi5EEEELi5ELi4EEEaNS5_IJPKaEEEaS8_S8_S9_NSB_INS5_IJSE_SG_SI_SI_SG_SG_SK_SK_SG_SN_SN_SP_SP_SR_SG_SG_NSQ_INS5_IJiNS_17integral_constantIiLi128EEEEEELb0EEENSF_INS27_IiLi4EEEEEEEENS5_IJSU_SV_SW_SX_SY_SZ_S10_S11_S12_S13_S14_S15_S16_S17_S18_NST_IJLi19EEEES1G_NST_IJLi20EEEEEEENS5_IJS1A_SZ_S10_S11_S12_S1B_S1C_S1D_S1E_S15_S16_S18_S17_S1F_S1G_NST_IJLi22EEEENST_IJLi23ELi24EEEENST_IJLi25EEEEEEENST_IJLi22ELi23ELi24ELi25EEEElEENSB_INS5_IJSR_SP_SP_SR_SG_SG_S2A_S2C_EEENS5_IJSU_SV_SW_SY_SX_SZ_S11_S10_EEENS5_IJS1M_SX_SY_S1N_S11_S12_NST_IJLi9ELi10EEEENST_IJLi11EEEEEEENST_IJLi8ELi9ELi10ELi11EEEElEENS5_IJNSB_INS5_IJSK_SP_SP_NSQ_INS5_IJiNS27_IiLi2EEENS27_IiLi64EEEEEELb0EEES2X_EEENS5_IJSU_SV_SW_SX_SY_EEENS5_IJS1M_SX_SY_NST_IJLi5ELi6ELi7EEEENST_IJLi8ELi9ELi10EEEEEEENST_IJLi5ELi6ELi7ELi8ELi9ELi10EEEElEEEEES34_NS_31BlockToCTileMap_M00_N00_M01_N01ILi128ELi128ES1V_Lb0EEENS1_30ComputePtrOffsetOfStridedBatchILi1ELi1ELi1EvEELb1ELb1EEEvPKT0_S3C_T1_PT2_T3_T4_T5_iT6_T7_T8_T9_T10_T11_,comdat
.Lfunc_end6:
	.size	_ZN2ck16tensor_operation6device12_GLOBAL__N_137kernel_grouped_conv_fwd_dl_multiple_dINS_32GridwiseGemmDlMultipleD_km_kn_mnILi256EaiNS_5TupleIJaEEEaNS0_12element_wise11PassThroughES8_NS7_7AddReluELNS_25InMemoryDataOperationEnumE0ENS_16TensorDescriptorINS5_IJNS_5EmbedINS5_IJiiiiEEESD_Lb0EEENS_11PassThroughIiEENS_3PadIiiiLb0EEESI_SG_SG_NSC_INS5_IJiiEEESJ_Lb0EEESK_SG_NS_23Merge_v2_magic_divisionINS5_IJiiiEEEEESN_NS_8RightPadIiiLb0EEESP_NS_7UnMergeISJ_Lb0EEESG_EEENS5_IJNS_8SequenceIJLi0EEEENST_IJLi1EEEENST_IJLi2EEEENST_IJLi3EEEENST_IJLi4EEEENST_IJLi5EEEENST_IJLi6EEEENST_IJLi7EEEENST_IJLi8EEEENST_IJLi9ELi11ELi13EEEENST_IJLi10ELi12ELi14EEEENST_IJLi15EEEENST_IJLi16EEEENST_IJLi18EEEENST_IJLi17EEEEEEENS5_IJNST_IJLi1ELi2ELi3ELi4EEEESZ_S10_S11_S12_NST_IJLi9EEEENST_IJLi10ELi11EEEENST_IJLi12ELi13EEEENST_IJLi14EEEES15_S16_S18_S17_NST_IJLi19ELi20EEEENST_IJLi21EEEEEEENST_IJLi19ELi21ELi20EEEElEENSB_INS5_IJSR_SP_SP_SR_SG_EEENS5_IJSU_SV_SW_SY_SX_EEENS5_IJNST_IJLi1ELi2EEEESX_SY_NST_IJLi5ELi6EEEES11_EEENST_IJLi5ELi7ELi6EEEElEENSB_INS5_IJSK_SP_SP_EEENS5_IJSU_SV_SW_EEENS5_IJS1M_SX_SY_EEENST_IJLi3ELi4EEEElEELi128ELi128ELi16ELi4ELi4ELi4ELi1ENST_IJLi8ELi2EEEES1W_NST_IJLi8ELi1ELi1ELi4EEEENST_IJLi2ELi1ELi128ELi1EEEENST_IJLi1ELi2ELi0ELi3EEEES1Z_NST_IJLi4ELi1ELi1ELi4EEEES1Z_NST_IJLi1ELi1ELi1ELi4EEEES1X_S1Y_S1Z_S1Z_S20_S1Z_S21_NST_IJLi0ELi1ELi2ELi3ELi4ELi5EEEELi5ELi4EEEaNS5_IJPKaEEEaS8_S8_S9_NSB_INS5_IJSE_SG_SI_SI_SG_SG_SK_SK_SG_SN_SN_SP_SP_SR_SG_SG_NSQ_INS5_IJiNS_17integral_constantIiLi128EEEEEELb0EEENSF_INS27_IiLi4EEEEEEEENS5_IJSU_SV_SW_SX_SY_SZ_S10_S11_S12_S13_S14_S15_S16_S17_S18_NST_IJLi19EEEES1G_NST_IJLi20EEEEEEENS5_IJS1A_SZ_S10_S11_S12_S1B_S1C_S1D_S1E_S15_S16_S18_S17_S1F_S1G_NST_IJLi22EEEENST_IJLi23ELi24EEEENST_IJLi25EEEEEEENST_IJLi22ELi23ELi24ELi25EEEElEENSB_INS5_IJSR_SP_SP_SR_SG_SG_S2A_S2C_EEENS5_IJSU_SV_SW_SY_SX_SZ_S11_S10_EEENS5_IJS1M_SX_SY_S1N_S11_S12_NST_IJLi9ELi10EEEENST_IJLi11EEEEEEENST_IJLi8ELi9ELi10ELi11EEEElEENS5_IJNSB_INS5_IJSK_SP_SP_NSQ_INS5_IJiNS27_IiLi2EEENS27_IiLi64EEEEEELb0EEES2X_EEENS5_IJSU_SV_SW_SX_SY_EEENS5_IJS1M_SX_SY_NST_IJLi5ELi6ELi7EEEENST_IJLi8ELi9ELi10EEEEEEENST_IJLi5ELi6ELi7ELi8ELi9ELi10EEEElEEEEES34_NS_31BlockToCTileMap_M00_N00_M01_N01ILi128ELi128ES1V_Lb0EEENS1_30ComputePtrOffsetOfStridedBatchILi1ELi1ELi1EvEELb1ELb1EEEvPKT0_S3C_T1_PT2_T3_T4_T5_iT6_T7_T8_T9_T10_T11_, .Lfunc_end6-_ZN2ck16tensor_operation6device12_GLOBAL__N_137kernel_grouped_conv_fwd_dl_multiple_dINS_32GridwiseGemmDlMultipleD_km_kn_mnILi256EaiNS_5TupleIJaEEEaNS0_12element_wise11PassThroughES8_NS7_7AddReluELNS_25InMemoryDataOperationEnumE0ENS_16TensorDescriptorINS5_IJNS_5EmbedINS5_IJiiiiEEESD_Lb0EEENS_11PassThroughIiEENS_3PadIiiiLb0EEESI_SG_SG_NSC_INS5_IJiiEEESJ_Lb0EEESK_SG_NS_23Merge_v2_magic_divisionINS5_IJiiiEEEEESN_NS_8RightPadIiiLb0EEESP_NS_7UnMergeISJ_Lb0EEESG_EEENS5_IJNS_8SequenceIJLi0EEEENST_IJLi1EEEENST_IJLi2EEEENST_IJLi3EEEENST_IJLi4EEEENST_IJLi5EEEENST_IJLi6EEEENST_IJLi7EEEENST_IJLi8EEEENST_IJLi9ELi11ELi13EEEENST_IJLi10ELi12ELi14EEEENST_IJLi15EEEENST_IJLi16EEEENST_IJLi18EEEENST_IJLi17EEEEEEENS5_IJNST_IJLi1ELi2ELi3ELi4EEEESZ_S10_S11_S12_NST_IJLi9EEEENST_IJLi10ELi11EEEENST_IJLi12ELi13EEEENST_IJLi14EEEES15_S16_S18_S17_NST_IJLi19ELi20EEEENST_IJLi21EEEEEEENST_IJLi19ELi21ELi20EEEElEENSB_INS5_IJSR_SP_SP_SR_SG_EEENS5_IJSU_SV_SW_SY_SX_EEENS5_IJNST_IJLi1ELi2EEEESX_SY_NST_IJLi5ELi6EEEES11_EEENST_IJLi5ELi7ELi6EEEElEENSB_INS5_IJSK_SP_SP_EEENS5_IJSU_SV_SW_EEENS5_IJS1M_SX_SY_EEENST_IJLi3ELi4EEEElEELi128ELi128ELi16ELi4ELi4ELi4ELi1ENST_IJLi8ELi2EEEES1W_NST_IJLi8ELi1ELi1ELi4EEEENST_IJLi2ELi1ELi128ELi1EEEENST_IJLi1ELi2ELi0ELi3EEEES1Z_NST_IJLi4ELi1ELi1ELi4EEEES1Z_NST_IJLi1ELi1ELi1ELi4EEEES1X_S1Y_S1Z_S1Z_S20_S1Z_S21_NST_IJLi0ELi1ELi2ELi3ELi4ELi5EEEELi5ELi4EEEaNS5_IJPKaEEEaS8_S8_S9_NSB_INS5_IJSE_SG_SI_SI_SG_SG_SK_SK_SG_SN_SN_SP_SP_SR_SG_SG_NSQ_INS5_IJiNS_17integral_constantIiLi128EEEEEELb0EEENSF_INS27_IiLi4EEEEEEEENS5_IJSU_SV_SW_SX_SY_SZ_S10_S11_S12_S13_S14_S15_S16_S17_S18_NST_IJLi19EEEES1G_NST_IJLi20EEEEEEENS5_IJS1A_SZ_S10_S11_S12_S1B_S1C_S1D_S1E_S15_S16_S18_S17_S1F_S1G_NST_IJLi22EEEENST_IJLi23ELi24EEEENST_IJLi25EEEEEEENST_IJLi22ELi23ELi24ELi25EEEElEENSB_INS5_IJSR_SP_SP_SR_SG_SG_S2A_S2C_EEENS5_IJSU_SV_SW_SY_SX_SZ_S11_S10_EEENS5_IJS1M_SX_SY_S1N_S11_S12_NST_IJLi9ELi10EEEENST_IJLi11EEEEEEENST_IJLi8ELi9ELi10ELi11EEEElEENS5_IJNSB_INS5_IJSK_SP_SP_NSQ_INS5_IJiNS27_IiLi2EEENS27_IiLi64EEEEEELb0EEES2X_EEENS5_IJSU_SV_SW_SX_SY_EEENS5_IJS1M_SX_SY_NST_IJLi5ELi6ELi7EEEENST_IJLi8ELi9ELi10EEEEEEENST_IJLi5ELi6ELi7ELi8ELi9ELi10EEEElEEEEES34_NS_31BlockToCTileMap_M00_N00_M01_N01ILi128ELi128ES1V_Lb0EEENS1_30ComputePtrOffsetOfStridedBatchILi1ELi1ELi1EvEELb1ELb1EEEvPKT0_S3C_T1_PT2_T3_T4_T5_iT6_T7_T8_T9_T10_T11_
                                        ; -- End function
	.section	.AMDGPU.csdata,"",@progbits
; Kernel info:
; codeLenInByte = 14692
; NumSgprs: 94
; NumVgprs: 113
; ScratchSize: 480
; MemoryBound: 0
; FloatMode: 240
; IeeeMode: 1
; LDSByteSize: 32768 bytes/workgroup (compile time only)
; SGPRBlocks: 11
; VGPRBlocks: 14
; NumSGPRsForWavesPerEU: 94
; NumVGPRsForWavesPerEU: 113
; Occupancy: 8
; WaveLimiterHint : 1
; COMPUTE_PGM_RSRC2:SCRATCH_EN: 1
; COMPUTE_PGM_RSRC2:USER_SGPR: 15
; COMPUTE_PGM_RSRC2:TRAP_HANDLER: 0
; COMPUTE_PGM_RSRC2:TGID_X_EN: 1
; COMPUTE_PGM_RSRC2:TGID_Y_EN: 0
; COMPUTE_PGM_RSRC2:TGID_Z_EN: 0
; COMPUTE_PGM_RSRC2:TIDIG_COMP_CNT: 0
	.section	.text._ZN2ck16tensor_operation6device12_GLOBAL__N_137kernel_grouped_conv_fwd_dl_multiple_dINS_32GridwiseGemmDlMultipleD_km_kn_mnILi256EaiNS_5TupleIJaEEEaNS0_12element_wise11PassThroughES8_NS7_7AddReluELNS_25InMemoryDataOperationEnumE0ENS_16TensorDescriptorINS5_IJNS_5EmbedINS5_IJiiiiEEESD_Lb0EEENS_11PassThroughIiEENS_3PadIiiiLb0EEESI_SG_SG_NSC_INS5_IJiiEEESJ_Lb0EEESK_SG_NS_23Merge_v2_magic_divisionINS5_IJiiiEEEEESN_NS_8RightPadIiiLb0EEESP_NS_7UnMergeISJ_Lb0EEESG_EEENS5_IJNS_8SequenceIJLi0EEEENST_IJLi1EEEENST_IJLi2EEEENST_IJLi3EEEENST_IJLi4EEEENST_IJLi5EEEENST_IJLi6EEEENST_IJLi7EEEENST_IJLi8EEEENST_IJLi9ELi11ELi13EEEENST_IJLi10ELi12ELi14EEEENST_IJLi15EEEENST_IJLi16EEEENST_IJLi18EEEENST_IJLi17EEEEEEENS5_IJNST_IJLi1ELi2ELi3ELi4EEEESZ_S10_S11_S12_NST_IJLi9EEEENST_IJLi10ELi11EEEENST_IJLi12ELi13EEEENST_IJLi14EEEES15_S16_S18_S17_NST_IJLi19ELi20EEEENST_IJLi21EEEEEEENST_IJLi19ELi21ELi20EEEElEENSB_INS5_IJSR_SP_SP_SR_SG_EEENS5_IJSU_SV_SW_SY_SX_EEENS5_IJNST_IJLi1ELi2EEEESX_SY_NST_IJLi5ELi6EEEES11_EEENST_IJLi5ELi7ELi6EEEElEENSB_INS5_IJSK_SP_SP_EEENS5_IJSU_SV_SW_EEENS5_IJS1M_SX_SY_EEENST_IJLi3ELi4EEEElEELi128ELi128ELi16ELi4ELi4ELi4ELi1ENST_IJLi8ELi2EEEES1W_NST_IJLi8ELi1ELi1ELi4EEEENST_IJLi2ELi1ELi128ELi1EEEENST_IJLi1ELi2ELi0ELi3EEEES1Z_NST_IJLi4ELi1ELi1ELi4EEEES1Z_NST_IJLi1ELi1ELi1ELi4EEEES1X_S1Y_S1Z_S1Z_S20_S1Z_S21_NST_IJLi0ELi1ELi2ELi3ELi4ELi5EEEELi5ELi4EEEaNS5_IJPKaEEEaS8_S8_S9_NSB_INS5_IJSE_SG_SI_SI_SG_SG_SK_SK_SG_SN_SN_SP_SP_SR_SG_SG_NSQ_INS5_IJiNS_17integral_constantIiLi128EEEEEELb0EEENSF_INS27_IiLi4EEEEEEEENS5_IJSU_SV_SW_SX_SY_SZ_S10_S11_S12_S13_S14_S15_S16_S17_S18_NST_IJLi19EEEES1G_NST_IJLi20EEEEEEENS5_IJS1A_SZ_S10_S11_S12_S1B_S1C_S1D_S1E_S15_S16_S18_S17_S1F_S1G_NST_IJLi22EEEENST_IJLi23ELi24EEEENST_IJLi25EEEEEEENST_IJLi22ELi23ELi24ELi25EEEElEENSB_INS5_IJSR_SP_SP_SR_SG_SG_S2A_S2C_EEENS5_IJSU_SV_SW_SY_SX_SZ_S11_S10_EEENS5_IJS1M_SX_SY_S1N_S11_S12_NST_IJLi9ELi10EEEENST_IJLi11EEEEEEENST_IJLi8ELi9ELi10ELi11EEEElEENS5_IJNSB_INS5_IJSK_SP_SP_NSQ_INS5_IJiNS27_IiLi2EEENS27_IiLi64EEEEEELb0EEES2X_EEENS5_IJSU_SV_SW_SX_SY_EEENS5_IJS1M_SX_SY_NST_IJLi5ELi6ELi7EEEENST_IJLi8ELi9ELi10EEEEEEENST_IJLi5ELi6ELi7ELi8ELi9ELi10EEEElEEEEES34_NS_31BlockToCTileMap_M00_N00_M01_N01ILi128ELi128ES1V_Lb0EEENS1_30ComputePtrOffsetOfStridedBatchILi1ELi1ELi1EvEELb1ELb0EEEvPKT0_S3C_T1_PT2_T3_T4_T5_iT6_T7_T8_T9_T10_T11_,"axG",@progbits,_ZN2ck16tensor_operation6device12_GLOBAL__N_137kernel_grouped_conv_fwd_dl_multiple_dINS_32GridwiseGemmDlMultipleD_km_kn_mnILi256EaiNS_5TupleIJaEEEaNS0_12element_wise11PassThroughES8_NS7_7AddReluELNS_25InMemoryDataOperationEnumE0ENS_16TensorDescriptorINS5_IJNS_5EmbedINS5_IJiiiiEEESD_Lb0EEENS_11PassThroughIiEENS_3PadIiiiLb0EEESI_SG_SG_NSC_INS5_IJiiEEESJ_Lb0EEESK_SG_NS_23Merge_v2_magic_divisionINS5_IJiiiEEEEESN_NS_8RightPadIiiLb0EEESP_NS_7UnMergeISJ_Lb0EEESG_EEENS5_IJNS_8SequenceIJLi0EEEENST_IJLi1EEEENST_IJLi2EEEENST_IJLi3EEEENST_IJLi4EEEENST_IJLi5EEEENST_IJLi6EEEENST_IJLi7EEEENST_IJLi8EEEENST_IJLi9ELi11ELi13EEEENST_IJLi10ELi12ELi14EEEENST_IJLi15EEEENST_IJLi16EEEENST_IJLi18EEEENST_IJLi17EEEEEEENS5_IJNST_IJLi1ELi2ELi3ELi4EEEESZ_S10_S11_S12_NST_IJLi9EEEENST_IJLi10ELi11EEEENST_IJLi12ELi13EEEENST_IJLi14EEEES15_S16_S18_S17_NST_IJLi19ELi20EEEENST_IJLi21EEEEEEENST_IJLi19ELi21ELi20EEEElEENSB_INS5_IJSR_SP_SP_SR_SG_EEENS5_IJSU_SV_SW_SY_SX_EEENS5_IJNST_IJLi1ELi2EEEESX_SY_NST_IJLi5ELi6EEEES11_EEENST_IJLi5ELi7ELi6EEEElEENSB_INS5_IJSK_SP_SP_EEENS5_IJSU_SV_SW_EEENS5_IJS1M_SX_SY_EEENST_IJLi3ELi4EEEElEELi128ELi128ELi16ELi4ELi4ELi4ELi1ENST_IJLi8ELi2EEEES1W_NST_IJLi8ELi1ELi1ELi4EEEENST_IJLi2ELi1ELi128ELi1EEEENST_IJLi1ELi2ELi0ELi3EEEES1Z_NST_IJLi4ELi1ELi1ELi4EEEES1Z_NST_IJLi1ELi1ELi1ELi4EEEES1X_S1Y_S1Z_S1Z_S20_S1Z_S21_NST_IJLi0ELi1ELi2ELi3ELi4ELi5EEEELi5ELi4EEEaNS5_IJPKaEEEaS8_S8_S9_NSB_INS5_IJSE_SG_SI_SI_SG_SG_SK_SK_SG_SN_SN_SP_SP_SR_SG_SG_NSQ_INS5_IJiNS_17integral_constantIiLi128EEEEEELb0EEENSF_INS27_IiLi4EEEEEEEENS5_IJSU_SV_SW_SX_SY_SZ_S10_S11_S12_S13_S14_S15_S16_S17_S18_NST_IJLi19EEEES1G_NST_IJLi20EEEEEEENS5_IJS1A_SZ_S10_S11_S12_S1B_S1C_S1D_S1E_S15_S16_S18_S17_S1F_S1G_NST_IJLi22EEEENST_IJLi23ELi24EEEENST_IJLi25EEEEEEENST_IJLi22ELi23ELi24ELi25EEEElEENSB_INS5_IJSR_SP_SP_SR_SG_SG_S2A_S2C_EEENS5_IJSU_SV_SW_SY_SX_SZ_S11_S10_EEENS5_IJS1M_SX_SY_S1N_S11_S12_NST_IJLi9ELi10EEEENST_IJLi11EEEEEEENST_IJLi8ELi9ELi10ELi11EEEElEENS5_IJNSB_INS5_IJSK_SP_SP_NSQ_INS5_IJiNS27_IiLi2EEENS27_IiLi64EEEEEELb0EEES2X_EEENS5_IJSU_SV_SW_SX_SY_EEENS5_IJS1M_SX_SY_NST_IJLi5ELi6ELi7EEEENST_IJLi8ELi9ELi10EEEEEEENST_IJLi5ELi6ELi7ELi8ELi9ELi10EEEElEEEEES34_NS_31BlockToCTileMap_M00_N00_M01_N01ILi128ELi128ES1V_Lb0EEENS1_30ComputePtrOffsetOfStridedBatchILi1ELi1ELi1EvEELb1ELb0EEEvPKT0_S3C_T1_PT2_T3_T4_T5_iT6_T7_T8_T9_T10_T11_,comdat
	.globl	_ZN2ck16tensor_operation6device12_GLOBAL__N_137kernel_grouped_conv_fwd_dl_multiple_dINS_32GridwiseGemmDlMultipleD_km_kn_mnILi256EaiNS_5TupleIJaEEEaNS0_12element_wise11PassThroughES8_NS7_7AddReluELNS_25InMemoryDataOperationEnumE0ENS_16TensorDescriptorINS5_IJNS_5EmbedINS5_IJiiiiEEESD_Lb0EEENS_11PassThroughIiEENS_3PadIiiiLb0EEESI_SG_SG_NSC_INS5_IJiiEEESJ_Lb0EEESK_SG_NS_23Merge_v2_magic_divisionINS5_IJiiiEEEEESN_NS_8RightPadIiiLb0EEESP_NS_7UnMergeISJ_Lb0EEESG_EEENS5_IJNS_8SequenceIJLi0EEEENST_IJLi1EEEENST_IJLi2EEEENST_IJLi3EEEENST_IJLi4EEEENST_IJLi5EEEENST_IJLi6EEEENST_IJLi7EEEENST_IJLi8EEEENST_IJLi9ELi11ELi13EEEENST_IJLi10ELi12ELi14EEEENST_IJLi15EEEENST_IJLi16EEEENST_IJLi18EEEENST_IJLi17EEEEEEENS5_IJNST_IJLi1ELi2ELi3ELi4EEEESZ_S10_S11_S12_NST_IJLi9EEEENST_IJLi10ELi11EEEENST_IJLi12ELi13EEEENST_IJLi14EEEES15_S16_S18_S17_NST_IJLi19ELi20EEEENST_IJLi21EEEEEEENST_IJLi19ELi21ELi20EEEElEENSB_INS5_IJSR_SP_SP_SR_SG_EEENS5_IJSU_SV_SW_SY_SX_EEENS5_IJNST_IJLi1ELi2EEEESX_SY_NST_IJLi5ELi6EEEES11_EEENST_IJLi5ELi7ELi6EEEElEENSB_INS5_IJSK_SP_SP_EEENS5_IJSU_SV_SW_EEENS5_IJS1M_SX_SY_EEENST_IJLi3ELi4EEEElEELi128ELi128ELi16ELi4ELi4ELi4ELi1ENST_IJLi8ELi2EEEES1W_NST_IJLi8ELi1ELi1ELi4EEEENST_IJLi2ELi1ELi128ELi1EEEENST_IJLi1ELi2ELi0ELi3EEEES1Z_NST_IJLi4ELi1ELi1ELi4EEEES1Z_NST_IJLi1ELi1ELi1ELi4EEEES1X_S1Y_S1Z_S1Z_S20_S1Z_S21_NST_IJLi0ELi1ELi2ELi3ELi4ELi5EEEELi5ELi4EEEaNS5_IJPKaEEEaS8_S8_S9_NSB_INS5_IJSE_SG_SI_SI_SG_SG_SK_SK_SG_SN_SN_SP_SP_SR_SG_SG_NSQ_INS5_IJiNS_17integral_constantIiLi128EEEEEELb0EEENSF_INS27_IiLi4EEEEEEEENS5_IJSU_SV_SW_SX_SY_SZ_S10_S11_S12_S13_S14_S15_S16_S17_S18_NST_IJLi19EEEES1G_NST_IJLi20EEEEEEENS5_IJS1A_SZ_S10_S11_S12_S1B_S1C_S1D_S1E_S15_S16_S18_S17_S1F_S1G_NST_IJLi22EEEENST_IJLi23ELi24EEEENST_IJLi25EEEEEEENST_IJLi22ELi23ELi24ELi25EEEElEENSB_INS5_IJSR_SP_SP_SR_SG_SG_S2A_S2C_EEENS5_IJSU_SV_SW_SY_SX_SZ_S11_S10_EEENS5_IJS1M_SX_SY_S1N_S11_S12_NST_IJLi9ELi10EEEENST_IJLi11EEEEEEENST_IJLi8ELi9ELi10ELi11EEEElEENS5_IJNSB_INS5_IJSK_SP_SP_NSQ_INS5_IJiNS27_IiLi2EEENS27_IiLi64EEEEEELb0EEES2X_EEENS5_IJSU_SV_SW_SX_SY_EEENS5_IJS1M_SX_SY_NST_IJLi5ELi6ELi7EEEENST_IJLi8ELi9ELi10EEEEEEENST_IJLi5ELi6ELi7ELi8ELi9ELi10EEEElEEEEES34_NS_31BlockToCTileMap_M00_N00_M01_N01ILi128ELi128ES1V_Lb0EEENS1_30ComputePtrOffsetOfStridedBatchILi1ELi1ELi1EvEELb1ELb0EEEvPKT0_S3C_T1_PT2_T3_T4_T5_iT6_T7_T8_T9_T10_T11_ ; -- Begin function _ZN2ck16tensor_operation6device12_GLOBAL__N_137kernel_grouped_conv_fwd_dl_multiple_dINS_32GridwiseGemmDlMultipleD_km_kn_mnILi256EaiNS_5TupleIJaEEEaNS0_12element_wise11PassThroughES8_NS7_7AddReluELNS_25InMemoryDataOperationEnumE0ENS_16TensorDescriptorINS5_IJNS_5EmbedINS5_IJiiiiEEESD_Lb0EEENS_11PassThroughIiEENS_3PadIiiiLb0EEESI_SG_SG_NSC_INS5_IJiiEEESJ_Lb0EEESK_SG_NS_23Merge_v2_magic_divisionINS5_IJiiiEEEEESN_NS_8RightPadIiiLb0EEESP_NS_7UnMergeISJ_Lb0EEESG_EEENS5_IJNS_8SequenceIJLi0EEEENST_IJLi1EEEENST_IJLi2EEEENST_IJLi3EEEENST_IJLi4EEEENST_IJLi5EEEENST_IJLi6EEEENST_IJLi7EEEENST_IJLi8EEEENST_IJLi9ELi11ELi13EEEENST_IJLi10ELi12ELi14EEEENST_IJLi15EEEENST_IJLi16EEEENST_IJLi18EEEENST_IJLi17EEEEEEENS5_IJNST_IJLi1ELi2ELi3ELi4EEEESZ_S10_S11_S12_NST_IJLi9EEEENST_IJLi10ELi11EEEENST_IJLi12ELi13EEEENST_IJLi14EEEES15_S16_S18_S17_NST_IJLi19ELi20EEEENST_IJLi21EEEEEEENST_IJLi19ELi21ELi20EEEElEENSB_INS5_IJSR_SP_SP_SR_SG_EEENS5_IJSU_SV_SW_SY_SX_EEENS5_IJNST_IJLi1ELi2EEEESX_SY_NST_IJLi5ELi6EEEES11_EEENST_IJLi5ELi7ELi6EEEElEENSB_INS5_IJSK_SP_SP_EEENS5_IJSU_SV_SW_EEENS5_IJS1M_SX_SY_EEENST_IJLi3ELi4EEEElEELi128ELi128ELi16ELi4ELi4ELi4ELi1ENST_IJLi8ELi2EEEES1W_NST_IJLi8ELi1ELi1ELi4EEEENST_IJLi2ELi1ELi128ELi1EEEENST_IJLi1ELi2ELi0ELi3EEEES1Z_NST_IJLi4ELi1ELi1ELi4EEEES1Z_NST_IJLi1ELi1ELi1ELi4EEEES1X_S1Y_S1Z_S1Z_S20_S1Z_S21_NST_IJLi0ELi1ELi2ELi3ELi4ELi5EEEELi5ELi4EEEaNS5_IJPKaEEEaS8_S8_S9_NSB_INS5_IJSE_SG_SI_SI_SG_SG_SK_SK_SG_SN_SN_SP_SP_SR_SG_SG_NSQ_INS5_IJiNS_17integral_constantIiLi128EEEEEELb0EEENSF_INS27_IiLi4EEEEEEEENS5_IJSU_SV_SW_SX_SY_SZ_S10_S11_S12_S13_S14_S15_S16_S17_S18_NST_IJLi19EEEES1G_NST_IJLi20EEEEEEENS5_IJS1A_SZ_S10_S11_S12_S1B_S1C_S1D_S1E_S15_S16_S18_S17_S1F_S1G_NST_IJLi22EEEENST_IJLi23ELi24EEEENST_IJLi25EEEEEEENST_IJLi22ELi23ELi24ELi25EEEElEENSB_INS5_IJSR_SP_SP_SR_SG_SG_S2A_S2C_EEENS5_IJSU_SV_SW_SY_SX_SZ_S11_S10_EEENS5_IJS1M_SX_SY_S1N_S11_S12_NST_IJLi9ELi10EEEENST_IJLi11EEEEEEENST_IJLi8ELi9ELi10ELi11EEEElEENS5_IJNSB_INS5_IJSK_SP_SP_NSQ_INS5_IJiNS27_IiLi2EEENS27_IiLi64EEEEEELb0EEES2X_EEENS5_IJSU_SV_SW_SX_SY_EEENS5_IJS1M_SX_SY_NST_IJLi5ELi6ELi7EEEENST_IJLi8ELi9ELi10EEEEEEENST_IJLi5ELi6ELi7ELi8ELi9ELi10EEEElEEEEES34_NS_31BlockToCTileMap_M00_N00_M01_N01ILi128ELi128ES1V_Lb0EEENS1_30ComputePtrOffsetOfStridedBatchILi1ELi1ELi1EvEELb1ELb0EEEvPKT0_S3C_T1_PT2_T3_T4_T5_iT6_T7_T8_T9_T10_T11_
	.p2align	8
	.type	_ZN2ck16tensor_operation6device12_GLOBAL__N_137kernel_grouped_conv_fwd_dl_multiple_dINS_32GridwiseGemmDlMultipleD_km_kn_mnILi256EaiNS_5TupleIJaEEEaNS0_12element_wise11PassThroughES8_NS7_7AddReluELNS_25InMemoryDataOperationEnumE0ENS_16TensorDescriptorINS5_IJNS_5EmbedINS5_IJiiiiEEESD_Lb0EEENS_11PassThroughIiEENS_3PadIiiiLb0EEESI_SG_SG_NSC_INS5_IJiiEEESJ_Lb0EEESK_SG_NS_23Merge_v2_magic_divisionINS5_IJiiiEEEEESN_NS_8RightPadIiiLb0EEESP_NS_7UnMergeISJ_Lb0EEESG_EEENS5_IJNS_8SequenceIJLi0EEEENST_IJLi1EEEENST_IJLi2EEEENST_IJLi3EEEENST_IJLi4EEEENST_IJLi5EEEENST_IJLi6EEEENST_IJLi7EEEENST_IJLi8EEEENST_IJLi9ELi11ELi13EEEENST_IJLi10ELi12ELi14EEEENST_IJLi15EEEENST_IJLi16EEEENST_IJLi18EEEENST_IJLi17EEEEEEENS5_IJNST_IJLi1ELi2ELi3ELi4EEEESZ_S10_S11_S12_NST_IJLi9EEEENST_IJLi10ELi11EEEENST_IJLi12ELi13EEEENST_IJLi14EEEES15_S16_S18_S17_NST_IJLi19ELi20EEEENST_IJLi21EEEEEEENST_IJLi19ELi21ELi20EEEElEENSB_INS5_IJSR_SP_SP_SR_SG_EEENS5_IJSU_SV_SW_SY_SX_EEENS5_IJNST_IJLi1ELi2EEEESX_SY_NST_IJLi5ELi6EEEES11_EEENST_IJLi5ELi7ELi6EEEElEENSB_INS5_IJSK_SP_SP_EEENS5_IJSU_SV_SW_EEENS5_IJS1M_SX_SY_EEENST_IJLi3ELi4EEEElEELi128ELi128ELi16ELi4ELi4ELi4ELi1ENST_IJLi8ELi2EEEES1W_NST_IJLi8ELi1ELi1ELi4EEEENST_IJLi2ELi1ELi128ELi1EEEENST_IJLi1ELi2ELi0ELi3EEEES1Z_NST_IJLi4ELi1ELi1ELi4EEEES1Z_NST_IJLi1ELi1ELi1ELi4EEEES1X_S1Y_S1Z_S1Z_S20_S1Z_S21_NST_IJLi0ELi1ELi2ELi3ELi4ELi5EEEELi5ELi4EEEaNS5_IJPKaEEEaS8_S8_S9_NSB_INS5_IJSE_SG_SI_SI_SG_SG_SK_SK_SG_SN_SN_SP_SP_SR_SG_SG_NSQ_INS5_IJiNS_17integral_constantIiLi128EEEEEELb0EEENSF_INS27_IiLi4EEEEEEEENS5_IJSU_SV_SW_SX_SY_SZ_S10_S11_S12_S13_S14_S15_S16_S17_S18_NST_IJLi19EEEES1G_NST_IJLi20EEEEEEENS5_IJS1A_SZ_S10_S11_S12_S1B_S1C_S1D_S1E_S15_S16_S18_S17_S1F_S1G_NST_IJLi22EEEENST_IJLi23ELi24EEEENST_IJLi25EEEEEEENST_IJLi22ELi23ELi24ELi25EEEElEENSB_INS5_IJSR_SP_SP_SR_SG_SG_S2A_S2C_EEENS5_IJSU_SV_SW_SY_SX_SZ_S11_S10_EEENS5_IJS1M_SX_SY_S1N_S11_S12_NST_IJLi9ELi10EEEENST_IJLi11EEEEEEENST_IJLi8ELi9ELi10ELi11EEEElEENS5_IJNSB_INS5_IJSK_SP_SP_NSQ_INS5_IJiNS27_IiLi2EEENS27_IiLi64EEEEEELb0EEES2X_EEENS5_IJSU_SV_SW_SX_SY_EEENS5_IJS1M_SX_SY_NST_IJLi5ELi6ELi7EEEENST_IJLi8ELi9ELi10EEEEEEENST_IJLi5ELi6ELi7ELi8ELi9ELi10EEEElEEEEES34_NS_31BlockToCTileMap_M00_N00_M01_N01ILi128ELi128ES1V_Lb0EEENS1_30ComputePtrOffsetOfStridedBatchILi1ELi1ELi1EvEELb1ELb0EEEvPKT0_S3C_T1_PT2_T3_T4_T5_iT6_T7_T8_T9_T10_T11_,@function
_ZN2ck16tensor_operation6device12_GLOBAL__N_137kernel_grouped_conv_fwd_dl_multiple_dINS_32GridwiseGemmDlMultipleD_km_kn_mnILi256EaiNS_5TupleIJaEEEaNS0_12element_wise11PassThroughES8_NS7_7AddReluELNS_25InMemoryDataOperationEnumE0ENS_16TensorDescriptorINS5_IJNS_5EmbedINS5_IJiiiiEEESD_Lb0EEENS_11PassThroughIiEENS_3PadIiiiLb0EEESI_SG_SG_NSC_INS5_IJiiEEESJ_Lb0EEESK_SG_NS_23Merge_v2_magic_divisionINS5_IJiiiEEEEESN_NS_8RightPadIiiLb0EEESP_NS_7UnMergeISJ_Lb0EEESG_EEENS5_IJNS_8SequenceIJLi0EEEENST_IJLi1EEEENST_IJLi2EEEENST_IJLi3EEEENST_IJLi4EEEENST_IJLi5EEEENST_IJLi6EEEENST_IJLi7EEEENST_IJLi8EEEENST_IJLi9ELi11ELi13EEEENST_IJLi10ELi12ELi14EEEENST_IJLi15EEEENST_IJLi16EEEENST_IJLi18EEEENST_IJLi17EEEEEEENS5_IJNST_IJLi1ELi2ELi3ELi4EEEESZ_S10_S11_S12_NST_IJLi9EEEENST_IJLi10ELi11EEEENST_IJLi12ELi13EEEENST_IJLi14EEEES15_S16_S18_S17_NST_IJLi19ELi20EEEENST_IJLi21EEEEEEENST_IJLi19ELi21ELi20EEEElEENSB_INS5_IJSR_SP_SP_SR_SG_EEENS5_IJSU_SV_SW_SY_SX_EEENS5_IJNST_IJLi1ELi2EEEESX_SY_NST_IJLi5ELi6EEEES11_EEENST_IJLi5ELi7ELi6EEEElEENSB_INS5_IJSK_SP_SP_EEENS5_IJSU_SV_SW_EEENS5_IJS1M_SX_SY_EEENST_IJLi3ELi4EEEElEELi128ELi128ELi16ELi4ELi4ELi4ELi1ENST_IJLi8ELi2EEEES1W_NST_IJLi8ELi1ELi1ELi4EEEENST_IJLi2ELi1ELi128ELi1EEEENST_IJLi1ELi2ELi0ELi3EEEES1Z_NST_IJLi4ELi1ELi1ELi4EEEES1Z_NST_IJLi1ELi1ELi1ELi4EEEES1X_S1Y_S1Z_S1Z_S20_S1Z_S21_NST_IJLi0ELi1ELi2ELi3ELi4ELi5EEEELi5ELi4EEEaNS5_IJPKaEEEaS8_S8_S9_NSB_INS5_IJSE_SG_SI_SI_SG_SG_SK_SK_SG_SN_SN_SP_SP_SR_SG_SG_NSQ_INS5_IJiNS_17integral_constantIiLi128EEEEEELb0EEENSF_INS27_IiLi4EEEEEEEENS5_IJSU_SV_SW_SX_SY_SZ_S10_S11_S12_S13_S14_S15_S16_S17_S18_NST_IJLi19EEEES1G_NST_IJLi20EEEEEEENS5_IJS1A_SZ_S10_S11_S12_S1B_S1C_S1D_S1E_S15_S16_S18_S17_S1F_S1G_NST_IJLi22EEEENST_IJLi23ELi24EEEENST_IJLi25EEEEEEENST_IJLi22ELi23ELi24ELi25EEEElEENSB_INS5_IJSR_SP_SP_SR_SG_SG_S2A_S2C_EEENS5_IJSU_SV_SW_SY_SX_SZ_S11_S10_EEENS5_IJS1M_SX_SY_S1N_S11_S12_NST_IJLi9ELi10EEEENST_IJLi11EEEEEEENST_IJLi8ELi9ELi10ELi11EEEElEENS5_IJNSB_INS5_IJSK_SP_SP_NSQ_INS5_IJiNS27_IiLi2EEENS27_IiLi64EEEEEELb0EEES2X_EEENS5_IJSU_SV_SW_SX_SY_EEENS5_IJS1M_SX_SY_NST_IJLi5ELi6ELi7EEEENST_IJLi8ELi9ELi10EEEEEEENST_IJLi5ELi6ELi7ELi8ELi9ELi10EEEElEEEEES34_NS_31BlockToCTileMap_M00_N00_M01_N01ILi128ELi128ES1V_Lb0EEENS1_30ComputePtrOffsetOfStridedBatchILi1ELi1ELi1EvEELb1ELb0EEEvPKT0_S3C_T1_PT2_T3_T4_T5_iT6_T7_T8_T9_T10_T11_: ; @_ZN2ck16tensor_operation6device12_GLOBAL__N_137kernel_grouped_conv_fwd_dl_multiple_dINS_32GridwiseGemmDlMultipleD_km_kn_mnILi256EaiNS_5TupleIJaEEEaNS0_12element_wise11PassThroughES8_NS7_7AddReluELNS_25InMemoryDataOperationEnumE0ENS_16TensorDescriptorINS5_IJNS_5EmbedINS5_IJiiiiEEESD_Lb0EEENS_11PassThroughIiEENS_3PadIiiiLb0EEESI_SG_SG_NSC_INS5_IJiiEEESJ_Lb0EEESK_SG_NS_23Merge_v2_magic_divisionINS5_IJiiiEEEEESN_NS_8RightPadIiiLb0EEESP_NS_7UnMergeISJ_Lb0EEESG_EEENS5_IJNS_8SequenceIJLi0EEEENST_IJLi1EEEENST_IJLi2EEEENST_IJLi3EEEENST_IJLi4EEEENST_IJLi5EEEENST_IJLi6EEEENST_IJLi7EEEENST_IJLi8EEEENST_IJLi9ELi11ELi13EEEENST_IJLi10ELi12ELi14EEEENST_IJLi15EEEENST_IJLi16EEEENST_IJLi18EEEENST_IJLi17EEEEEEENS5_IJNST_IJLi1ELi2ELi3ELi4EEEESZ_S10_S11_S12_NST_IJLi9EEEENST_IJLi10ELi11EEEENST_IJLi12ELi13EEEENST_IJLi14EEEES15_S16_S18_S17_NST_IJLi19ELi20EEEENST_IJLi21EEEEEEENST_IJLi19ELi21ELi20EEEElEENSB_INS5_IJSR_SP_SP_SR_SG_EEENS5_IJSU_SV_SW_SY_SX_EEENS5_IJNST_IJLi1ELi2EEEESX_SY_NST_IJLi5ELi6EEEES11_EEENST_IJLi5ELi7ELi6EEEElEENSB_INS5_IJSK_SP_SP_EEENS5_IJSU_SV_SW_EEENS5_IJS1M_SX_SY_EEENST_IJLi3ELi4EEEElEELi128ELi128ELi16ELi4ELi4ELi4ELi1ENST_IJLi8ELi2EEEES1W_NST_IJLi8ELi1ELi1ELi4EEEENST_IJLi2ELi1ELi128ELi1EEEENST_IJLi1ELi2ELi0ELi3EEEES1Z_NST_IJLi4ELi1ELi1ELi4EEEES1Z_NST_IJLi1ELi1ELi1ELi4EEEES1X_S1Y_S1Z_S1Z_S20_S1Z_S21_NST_IJLi0ELi1ELi2ELi3ELi4ELi5EEEELi5ELi4EEEaNS5_IJPKaEEEaS8_S8_S9_NSB_INS5_IJSE_SG_SI_SI_SG_SG_SK_SK_SG_SN_SN_SP_SP_SR_SG_SG_NSQ_INS5_IJiNS_17integral_constantIiLi128EEEEEELb0EEENSF_INS27_IiLi4EEEEEEEENS5_IJSU_SV_SW_SX_SY_SZ_S10_S11_S12_S13_S14_S15_S16_S17_S18_NST_IJLi19EEEES1G_NST_IJLi20EEEEEEENS5_IJS1A_SZ_S10_S11_S12_S1B_S1C_S1D_S1E_S15_S16_S18_S17_S1F_S1G_NST_IJLi22EEEENST_IJLi23ELi24EEEENST_IJLi25EEEEEEENST_IJLi22ELi23ELi24ELi25EEEElEENSB_INS5_IJSR_SP_SP_SR_SG_SG_S2A_S2C_EEENS5_IJSU_SV_SW_SY_SX_SZ_S11_S10_EEENS5_IJS1M_SX_SY_S1N_S11_S12_NST_IJLi9ELi10EEEENST_IJLi11EEEEEEENST_IJLi8ELi9ELi10ELi11EEEElEENS5_IJNSB_INS5_IJSK_SP_SP_NSQ_INS5_IJiNS27_IiLi2EEENS27_IiLi64EEEEEELb0EEES2X_EEENS5_IJSU_SV_SW_SX_SY_EEENS5_IJS1M_SX_SY_NST_IJLi5ELi6ELi7EEEENST_IJLi8ELi9ELi10EEEEEEENST_IJLi5ELi6ELi7ELi8ELi9ELi10EEEElEEEEES34_NS_31BlockToCTileMap_M00_N00_M01_N01ILi128ELi128ES1V_Lb0EEENS1_30ComputePtrOffsetOfStridedBatchILi1ELi1ELi1EvEELb1ELb0EEEvPKT0_S3C_T1_PT2_T3_T4_T5_iT6_T7_T8_T9_T10_T11_
; %bb.0:
	s_clause 0x2
	s_load_b32 s2, s[0:1], 0x24
	s_load_b128 s[36:39], s[0:1], 0x38
	s_load_b32 s4, s[0:1], 0x2c8
	s_mov_b64 s[40:41], src_shared_base
	s_mov_b32 s24, 0
	s_clause 0x1
	s_load_b128 s[8:11], s[0:1], 0x0
	s_load_b64 s[56:57], s[0:1], 0x18
	s_mov_b32 s27, s24
	s_mov_b32 s25, s24
	;; [unrolled: 1-line block ×3, first 2 shown]
	v_dual_mov_b32 v41, s27 :: v_dual_mov_b32 v38, s24
	v_dual_mov_b32 v17, s41 :: v_dual_mov_b32 v40, s26
	v_dual_mov_b32 v39, s25 :: v_dual_lshlrev_b32 v2, 3, v0
	s_clause 0x1
	s_load_b128 s[28:31], s[0:1], 0x4c
	s_load_b64 s[58:59], s[0:1], 0x5c
	v_lshrrev_b32_e32 v21, 1, v0
	v_lshrrev_b32_e32 v6, 5, v0
	s_movk_i32 s75, 0x1c0
	s_mov_b32 s76, 0
	s_waitcnt lgkmcnt(0)
	s_abs_i32 s3, s2
	s_mov_b32 s77, 32
	v_cvt_f32_u32_e32 v1, s3
	s_sub_i32 s6, 0, s3
	s_abs_i32 s7, s4
	s_xor_b32 s2, s4, s2
	s_mov_b32 s82, s24
	v_rcp_iflag_f32_e32 v1, v1
	s_mov_b32 s83, s24
	s_movk_i32 s32, 0x1e0
	v_mov_b32_e32 v34, 0
	v_lshlrev_b32_e32 v8, 1, v0
	v_lshlrev_b32_e32 v0, 2, v0
	v_and_b32_e32 v22, 8, v2
	s_delay_alu instid0(VALU_DEP_4) | instskip(SKIP_1) | instid1(TRANS32_DEP_1)
	v_dual_mov_b32 v5, v34 :: v_dual_lshlrev_b32 v2, 6, v6
	v_mov_b32_e32 v7, v34
	v_mul_f32_e32 v1, 0x4f7ffffe, v1
	v_mov_b32_e32 v9, v34
	v_mov_b32_e32 v16, v34
	;; [unrolled: 1-line block ×4, first 2 shown]
	v_cvt_u32_f32_e32 v1, v1
	s_delay_alu instid0(VALU_DEP_1) | instskip(NEXT) | instid1(VALU_DEP_1)
	v_readfirstlane_b32 s5, v1
	s_mul_i32 s6, s6, s5
	s_delay_alu instid0(SALU_CYCLE_1) | instskip(NEXT) | instid1(SALU_CYCLE_1)
	s_mul_hi_u32 s6, s5, s6
	s_add_i32 s5, s5, s6
	s_ashr_i32 s6, s2, 31
	s_mul_hi_u32 s5, s7, s5
	s_delay_alu instid0(SALU_CYCLE_1) | instskip(NEXT) | instid1(SALU_CYCLE_1)
	s_mul_i32 s4, s5, s3
	s_sub_i32 s2, s7, s4
	s_add_i32 s4, s5, 1
	s_sub_i32 s7, s2, s3
	s_cmp_ge_u32 s2, s3
	s_cselect_b32 s4, s4, s5
	s_cselect_b32 s2, s7, s2
	s_add_i32 s5, s4, 1
	s_cmp_ge_u32 s2, s3
	s_clause 0x3
	s_load_b64 s[60:61], s[0:1], 0x74
	s_load_b64 s[62:63], s[0:1], 0x84
	s_load_b64 s[2:3], s[0:1], 0x94
	s_load_b64 s[70:71], s[0:1], 0xa0
	s_cselect_b32 s4, s5, s4
	s_abs_i32 s27, s15
	s_xor_b32 s4, s4, s6
	s_clause 0x3
	s_load_b64 s[12:13], s[0:1], 0xac
	s_load_b64 s[64:65], s[0:1], 0xbc
	;; [unrolled: 1-line block ×4, first 2 shown]
	s_sub_i32 s40, s4, s6
	s_clause 0x5
	s_load_b32 s87, s[0:1], 0x100
	s_load_b32 s85, s[0:1], 0x10c
	;; [unrolled: 1-line block ×6, first 2 shown]
	s_abs_i32 s43, s40
	s_clause 0x4
	s_load_b32 s88, s[0:1], 0x160
	s_load_b32 s46, s[0:1], 0x188
	s_load_b64 s[34:35], s[0:1], 0x198
	s_load_b32 s33, s[0:1], 0x1a4
	s_load_b32 s72, s[0:1], 0x1b0
	v_cvt_f32_u32_e32 v1, s43
	s_sub_i32 s26, 0, s43
	s_clause 0x5
	s_load_b32 s47, s[0:1], 0x244
	s_load_b32 s74, s[0:1], 0x254
	s_load_b128 s[4:7], s[0:1], 0x260
	s_load_b128 s[52:55], s[0:1], 0x274
	;; [unrolled: 1-line block ×3, first 2 shown]
	s_load_b256 s[16:23], s[0:1], 0x2a0
	s_clause 0x3
	scratch_store_b128 off, v[38:41], off offset:144
	scratch_store_b128 off, v[38:41], off offset:160
	;; [unrolled: 1-line block ×4, first 2 shown]
	v_rcp_iflag_f32_e32 v1, v1
	s_clause 0xb
	scratch_store_b128 off, v[38:41], off offset:208
	scratch_store_b128 off, v[38:41], off offset:224
	;; [unrolled: 1-line block ×12, first 2 shown]
	s_waitcnt lgkmcnt(0)
	v_mul_lo_u32 v23, s87, v22
	s_clause 0x1
	scratch_store_b64 off, v[16:17], off offset:400
	scratch_store_b8 off, v34, off offset:409
	v_mov_b32_e32 v16, 0x4000
	v_dual_mul_f32 v4, 0x4f7ffffe, v1 :: v_dual_mov_b32 v1, v34
	v_mov_b32_e32 v11, v34
	v_mov_b32_e32 v13, v34
	s_clause 0x1
	scratch_store_b64 off, v[16:17], off offset:416
	scratch_store_b8 off, v34, off offset:425
	v_cvt_u32_f32_e32 v10, v4
	v_mul_hi_u32 v14, v23, s67
	v_mul_lo_u32 v25, s88, v22
	v_mov_b32_e32 v4, v34
	s_delay_alu instid0(VALU_DEP_4) | instskip(SKIP_3) | instid1(VALU_DEP_4)
	v_readfirstlane_b32 s25, v10
	v_and_b32_e32 v10, 0x1f8, v8
	v_and_b32_e32 v8, 0x1fc, v8
	v_add_nc_u32_e32 v14, v23, v14
	s_mul_i32 s26, s26, s25
	s_delay_alu instid0(VALU_DEP_3)
	v_sub_nc_u32_e32 v2, v10, v2
	s_mul_hi_u32 s26, s25, s26
	v_sub_nc_u32_e32 v8, v8, v10
	s_add_i32 s25, s25, s26
	s_xor_b32 s26, s15, s40
	s_mul_hi_u32 s25, s27, s25
	s_ashr_i32 s26, s26, 31
	s_mul_i32 s40, s25, s43
	v_lshrrev_b32_e32 v18, s69, v14
	s_sub_i32 s27, s27, s40
	s_add_i32 s40, s25, 1
	s_sub_i32 s41, s27, s43
	s_cmp_ge_u32 s27, s43
	v_lshl_add_u32 v35, v6, 3, v8
	s_cselect_b32 s25, s40, s25
	s_cselect_b32 s27, s41, s27
	s_add_i32 s40, s25, 1
	s_cmp_ge_u32 s27, s43
	v_mul_hi_u32 v8, v18, s66
	s_cselect_b32 s25, s40, s25
	v_and_or_b32 v37, v0, 4, v2
	s_xor_b32 s25, s25, s26
	v_lshlrev_b32_e32 v0, 2, v35
	s_sub_i32 s25, s25, s26
	s_mul_hi_u32 s26, s55, s15
	s_ashr_i32 s55, s25, 31
	s_mul_hi_u32 s27, s16, s25
	s_mul_i32 s40, s16, s25
	s_mul_hi_u32 s41, s18, s25
	s_mul_i32 s43, s18, s25
	;; [unrolled: 2-line block ×3, first 2 shown]
	s_mul_i32 s18, s18, s55
	s_mul_i32 s45, s22, s55
	;; [unrolled: 1-line block ×5, first 2 shown]
	s_add_i32 s16, s27, s16
	s_add_i32 s18, s41, s18
	;; [unrolled: 1-line block ×6, first 2 shown]
	s_add_u32 s40, s8, s40
	s_addc_u32 s41, s9, s16
	s_add_u32 s44, s10, s43
	s_addc_u32 s45, s11, s18
	s_add_i32 s8, s15, s26
	s_lshl_b32 s84, s87, 2
	s_lshr_b32 s8, s8, s51
	v_add_nc_u32_e32 v44, s84, v23
	s_mul_hi_u32 s9, s8, s54
	v_mov_b32_e32 v2, v35
	s_add_i32 s9, s8, s9
	v_add_nc_u32_e32 v14, v18, v8
	s_lshr_b32 s9, s9, s50
	v_mul_hi_u32 v20, v44, s67
	s_mul_hi_u32 s10, s9, s53
	v_mov_b32_e32 v6, v35
	s_add_i32 s10, s9, s10
	v_lshrrev_b32_e32 v27, s68, v14
	s_lshr_b32 s10, s10, s49
	v_lshlrev_b32_e32 v8, 2, v37
	s_mul_hi_u32 s11, s10, s52
	v_mul_lo_u32 v28, v18, s65
	s_add_i32 s11, s10, s11
	v_mov_b32_e32 v14, v37
	s_lshr_b32 s11, s11, s48
	s_mov_b32 s43, 0x31004000
	s_mul_i32 s11, s11, s4
	s_mul_i32 s4, s9, s6
	s_sub_i32 s6, s10, s11
	s_sub_i32 s51, s8, s4
	s_mul_i32 s6, s6, s47
	s_mul_i32 s10, s10, s5
	s_add_i32 s51, s51, s6
	s_mul_i32 s8, s8, s7
	v_lshl_or_b32 v24, s51, 7, v21
	s_sub_i32 s52, s15, s8
	s_mov_b32 s47, s43
	s_sub_i32 s59, s31, s59
	s_mul_i32 s4, s87, 12
	v_mul_hi_u32 v10, v24, s71
	s_add_i32 s84, s84, s4
	s_sub_i32 s28, s28, s30
	s_mov_b32 s54, 64
	s_movk_i32 s53, 0x1a0
	s_mul_i32 s16, s22, s25
	s_sub_i32 s85, s85, 32
	s_delay_alu instid0(VALU_DEP_1) | instskip(NEXT) | instid1(VALU_DEP_1)
	v_add_nc_u32_e32 v10, v24, v10
	v_lshrrev_b32_e32 v19, s13, v10
	v_mov_b32_e32 v10, v37
	s_delay_alu instid0(VALU_DEP_2)
	v_mul_hi_u32 v26, v19, s70
	v_mov_b32_e32 v36, v34
	s_clause 0x1
	scratch_store_b128 off, v[34:37], off offset:64
	scratch_store_b128 off, v[0:3], off offset:80
	v_add_nc_u32_e32 v2, v44, v20
	v_add_nc_u32_e32 v3, v19, v26
	v_mul_lo_u32 v1, v27, s64
	s_clause 0x1
	scratch_store_b128 off, v[4:7], off offset:96
	scratch_store_b128 off, v[8:11], off offset:112
	v_mul_lo_u32 v0, v27, s60
	v_lshrrev_b32_e32 v2, s69, v2
	v_lshrrev_b32_e32 v3, s12, v3
	v_mul_lo_u32 v8, v19, s3
	v_sub_nc_u32_e32 v5, v23, v28
	scratch_store_b8 off, v34, off offset:441
	v_mul_hi_u32 v7, v2, s66
	v_sub_nc_u32_e32 v6, v18, v1
	v_mul_lo_u32 v4, v3, s2
	s_sub_i32 s2, s9, s10
	v_mov_b32_e32 v16, 0x2000
	s_mul_i32 s2, s2, s74
	v_mul_lo_u32 v1, v6, s62
	s_add_i32 s52, s52, s2
	v_add_nc_u32_e32 v7, v2, v7
	v_lshl_or_b32 v26, s52, 7, v21
	v_sub_nc_u32_e32 v4, v19, v4
	v_sub_nc_u32_e32 v8, v24, v8
	s_lshl_b32 s2, s88, 2
	v_lshrrev_b32_e32 v58, s68, v7
	v_mul_lo_u32 v7, v2, s65
	v_mul_lo_u32 v36, v26, s14
	v_mad_u64_u32 v[18:19], null, v4, s61, v[0:1]
	s_delay_alu instid0(VALU_DEP_4)
	v_mul_lo_u32 v0, v58, s64
	v_mad_u64_u32 v[19:20], null, v8, s63, v[1:2]
	v_mul_lo_u32 v4, v5, s39
	v_sub_nc_u32_e32 v62, v44, v7
	v_dual_mov_b32 v12, v34 :: v_dual_add_nc_u32 v9, v36, v25
	v_subrev_nc_u32_e32 v1, s29, v18
	v_sub_nc_u32_e32 v59, v2, v0
	s_delay_alu instid0(VALU_DEP_4)
	v_sub_nc_u32_e32 v5, v62, v5
	scratch_store_b64 off, v[16:17], off offset:432
	v_mov_b32_e32 v16, 0x6000
	v_subrev_nc_u32_e32 v11, s58, v19
	v_sub_nc_u32_e32 v0, v59, v6
	v_mul_lo_u32 v8, v5, s39
	v_add_nc_u32_e32 v5, s2, v9
	scratch_store_b128 off, v[12:15], off offset:128
	v_mul_lo_u32 v13, v1, s37
	v_sub_nc_u32_e32 v1, v58, v27
	s_clause 0x1
	scratch_store_b64 off, v[16:17], off offset:448
	scratch_store_b8 off, v34, off offset:457
	v_mul_lo_u32 v12, v3, s36
	v_mul_lo_u32 v16, v0, s62
	v_cmp_gt_i32_e64 s3, s59, v19
	v_mul_lo_u32 v17, v1, s60
	buffer_load_b128 v[0:3], v9, s[44:47], 0 offen
	v_mad_u64_u32 v[9:10], null, v11, s38, v[4:5]
	buffer_load_b128 v[4:7], v5, s[44:47], 0 offen
	v_lshlrev_b32_e32 v20, 2, v21
	v_mul_lo_u32 v14, v16, s38
	v_add_nc_u32_e32 v60, v19, v16
	v_add_nc_u32_e32 v16, s2, v25
	v_cmp_le_i32_e64 s2, s58, v19
	v_mad_u64_u32 v[10:11], null, v17, s37, v[8:9]
	v_add3_u32 v8, v9, v12, v13
	v_cmp_le_i32_e64 s4, s58, v60
	v_cmp_gt_i32_e64 s5, s59, v60
	s_and_b32 s3, s2, s3
	v_add_nc_u32_e32 v61, v18, v17
	v_lshl_or_b32 v45, v22, 9, v20
	v_add3_u32 v34, v10, v14, v8
	s_clause 0x1
	buffer_load_b128 v[8:11], v8, s[40:43], 0 offen
	buffer_load_b128 v[12:15], v34, s[40:43], 0 offen
	s_clause 0x2
	s_load_b32 s6, s[0:1], 0xe4
	s_load_b32 s71, s[0:1], 0xf0
	s_load_b64 s[18:19], s[0:1], 0x228
	s_and_b32 s4, s4, s5
	s_clause 0x3
	s_load_b64 s[26:27], s[0:1], 0x1d8
	s_load_b64 s[48:49], s[0:1], 0x1e8
	s_load_b32 s36, s[0:1], 0x1f4
	s_load_b32 s50, s[0:1], 0x200
	v_or_b32_e32 v20, 36, v22
	v_or_b32_e32 v21, 32, v22
	v_or_b32_e32 v27, 20, v22
	v_or_b32_e32 v22, 16, v22
	s_mov_b64 s[14:15], src_private_base
	v_mul_lo_u32 v52, s87, v20
	v_mul_lo_u32 v53, s87, v21
	v_mul_lo_u32 v51, s87, v27
	v_mul_lo_u32 v50, s87, v22
	v_mul_lo_u32 v46, s88, v20
	v_mul_lo_u32 v47, s88, v21
	v_mul_lo_u32 v48, s88, v27
	v_mul_lo_u32 v49, s88, v22
	v_dual_mov_b32 v54, v52 :: v_dual_mov_b32 v55, v53
	v_mov_b32_e32 v56, v51
	s_waitcnt lgkmcnt(0)
	v_cmp_gt_i32_e32 vcc_lo, s71, v23
	v_cmp_gt_i32_e64 s2, s71, v44
	v_mov_b32_e32 v57, v50
	s_movk_i32 s19, 0x90
	s_movk_i32 s61, 0x190
	s_and_b32 s7, vcc_lo, s3
	v_cmp_le_i32_e32 vcc_lo, s29, v18
	v_cmp_gt_i32_e64 s3, s28, v18
	s_and_b32 s5, s2, s4
	v_cmp_gt_i32_e64 s4, s73, v25
	s_movk_i32 s74, 0x1b0
	s_mov_b32 s63, s15
	s_and_b32 s2, vcc_lo, s3
	v_cmp_le_i32_e32 vcc_lo, s29, v61
	s_and_b32 s7, s7, s2
	v_cmp_gt_i32_e64 s2, s28, v61
	s_mov_b32 s70, s15
	s_mov_b32 s27, s15
	;; [unrolled: 1-line block ×4, first 2 shown]
	s_and_b32 s3, vcc_lo, s2
	v_cmp_gt_i32_e64 s2, s86, v26
	s_and_b32 s5, s5, s3
	v_cmp_gt_i32_e32 vcc_lo, s73, v16
	s_mov_b32 s80, s15
	s_mov_b32 s81, s15
	s_and_b32 s3, s4, s2
	s_lshl_b32 s86, s88, 5
	s_and_b32 vcc_lo, vcc_lo, s2
	s_lshl_b32 s87, s87, 5
	s_sub_i32 s88, 0, s65
	s_waitcnt vmcnt(3)
	v_cndmask_b32_e64 v0, 0, v0, s3
	v_cndmask_b32_e64 v2, 0, v2, s3
	v_cndmask_b32_e64 v3, 0, v3, s3
	v_cndmask_b32_e64 v1, 0, v1, s3
	v_cmp_gt_i32_e64 s3, s6, v24
	v_perm_b32 v0, v0, v0, 0x3020104
	s_waitcnt vmcnt(2)
	v_cndmask_b32_e32 v4, 0, v4, vcc_lo
	v_cndmask_b32_e32 v6, 0, v6, vcc_lo
	v_perm_b32 v2, v2, v2, 0x3020104
	v_cndmask_b32_e32 v7, 0, v7, vcc_lo
	v_cndmask_b32_e32 v5, 0, v5, vcc_lo
	s_and_b32 vcc_lo, s3, s7
	ds_store_2addr_stride64_b32 v45, v0, v1 offset0:64 offset1:66
	ds_store_2addr_stride64_b32 v45, v2, v3 offset0:68 offset1:70
	v_perm_b32 v0, v4, v4, 0x3020104
	v_perm_b32 v1, v6, v6, 0x3020104
	s_waitcnt vmcnt(1)
	v_dual_cndmask_b32 v2, 0, v11 :: v_dual_cndmask_b32 v3, 0, v10
	v_cndmask_b32_e32 v4, 0, v9, vcc_lo
	v_cndmask_b32_e32 v6, 0, v8, vcc_lo
	s_and_b32 vcc_lo, s3, s5
	s_waitcnt vmcnt(0)
	v_dual_cndmask_b32 v9, 0, v12 :: v_dual_cndmask_b32 v10, 0, v14
	s_delay_alu instid0(VALU_DEP_2) | instskip(SKIP_2) | instid1(VALU_DEP_4)
	v_perm_b32 v6, v6, v6, 0x3020104
	v_perm_b32 v3, v3, v3, 0x3020104
	v_cndmask_b32_e32 v11, 0, v13, vcc_lo
	v_perm_b32 v9, v9, v9, 0x3020104
	v_cndmask_b32_e32 v8, 0, v15, vcc_lo
	v_perm_b32 v10, v10, v10, 0x3020104
	ds_store_2addr_stride64_b32 v45, v0, v5 offset0:72 offset1:74
	ds_store_2addr_stride64_b32 v45, v6, v4 offset1:2
	ds_store_2addr_stride64_b32 v45, v3, v2 offset0:4 offset1:6
	ds_store_2addr_stride64_b32 v45, v9, v11 offset0:8 offset1:10
	;; [unrolled: 1-line block ×4, first 2 shown]
.LBB7_1:                                ; =>This Inner Loop Header: Depth=1
	v_mul_hi_u32 v0, s67, v57
	v_add_nc_u32_e32 v96, s24, v50
	v_mul_hi_u32 v1, s67, v56
	v_add_nc_u32_e32 v32, s24, v51
	s_getpc_b64 s[22:23]
	s_add_u32 s22, s22, _ZNK2ck6detail15static_for_implINS_8SequenceIJLi1ELi2ELi3ELi4ELi5ELi6ELi7ELi8ELi9ELi10ELi11ELi12ELi13ELi14ELi15EEEEEclIZNKS_80BlockwiseGemmDl_A_BK0_BM_BK1_B_BK0_BN_BK1_C_BM0_BM1_BN0_BN1_pipeline_BM0_2_BN0_2ILi256EaaiKNS_16TensorDescriptorINS_5TupleIJNS_5EmbedINS8_IJNS_17integral_constantIiLi16EEENSA_IiLi128EEENSA_IiLi4EEEEEENS8_IJNSA_IiLi512EEESD_NSA_IiLi1EEEEEELb0EEEEEENS8_IJNS2_IJLi0EEEEEEENS8_IJNS2_IJLi1ELi2ELi3EEEEEEESM_NSA_IlLl8192EEEEESQ_Li4ELi4ELi1ENS2_IJLi8ELi2EEEESR_Li4ELi4ELb0EE3RunINS7_INS8_IJNS_7UnMergeINS8_IJNSA_IiLi2EEESD_SV_SD_EEELb0EEEEEESL_NS8_IJNS2_IJLi1ELi2ELi3ELi4EEEEEEESZ_NSA_IlLl64EEEEENS_13DynamicBufferILNS_16AddressSpaceEnumE2EaSO_Lb1ELNS_22AmdBufferCoherenceEnumE0EiEES16_NS_12StaticBufferILS14_4EiLi64ELb1EEEEEvRKT_RKT0_RKT1_RT2_EUlS19_E_EEvS19_@rel32@lo+4
	s_addc_u32 s23, s23, _ZNK2ck6detail15static_for_implINS_8SequenceIJLi1ELi2ELi3ELi4ELi5ELi6ELi7ELi8ELi9ELi10ELi11ELi12ELi13ELi14ELi15EEEEEclIZNKS_80BlockwiseGemmDl_A_BK0_BM_BK1_B_BK0_BN_BK1_C_BM0_BM1_BN0_BN1_pipeline_BM0_2_BN0_2ILi256EaaiKNS_16TensorDescriptorINS_5TupleIJNS_5EmbedINS8_IJNS_17integral_constantIiLi16EEENSA_IiLi128EEENSA_IiLi4EEEEEENS8_IJNSA_IiLi512EEESD_NSA_IiLi1EEEEEELb0EEEEEENS8_IJNS2_IJLi0EEEEEEENS8_IJNS2_IJLi1ELi2ELi3EEEEEEESM_NSA_IlLl8192EEEEESQ_Li4ELi4ELi1ENS2_IJLi8ELi2EEEESR_Li4ELi4ELb0EE3RunINS7_INS8_IJNS_7UnMergeINS8_IJNSA_IiLi2EEESD_SV_SD_EEELb0EEEEEESL_NS8_IJNS2_IJLi1ELi2ELi3ELi4EEEEEEESZ_NSA_IlLl64EEEEENS_13DynamicBufferILNS_16AddressSpaceEnumE2EaSO_Lb1ELNS_22AmdBufferCoherenceEnumE0EiEES16_NS_12StaticBufferILS14_4EiLi64ELb1EEEEEvRKT_RKT0_RKT1_RT2_EUlS19_E_EEvS19_@rel32@hi+12
	v_mul_hi_u32 v99, s67, v54
	v_cmp_gt_i32_e64 s4, s71, v32
	v_add_nc_u32_e32 v0, v96, v0
	v_add_nc_u32_e32 v1, v32, v1
	s_delay_alu instid0(VALU_DEP_2) | instskip(NEXT) | instid1(VALU_DEP_2)
	v_lshrrev_b32_e32 v0, s69, v0
	v_lshrrev_b32_e32 v1, s69, v1
	s_delay_alu instid0(VALU_DEP_2) | instskip(NEXT) | instid1(VALU_DEP_2)
	v_mul_hi_u32 v2, v0, s66
	v_mul_hi_u32 v3, v1, s66
	v_mul_lo_u32 v4, s88, v0
	v_mad_u64_u32 v[42:43], null, s88, v1, v[32:33]
	s_delay_alu instid0(VALU_DEP_4) | instskip(NEXT) | instid1(VALU_DEP_4)
	v_add_nc_u32_e32 v2, v0, v2
	v_add_nc_u32_e32 v3, v1, v3
	s_delay_alu instid0(VALU_DEP_2) | instskip(NEXT) | instid1(VALU_DEP_2)
	v_lshrrev_b32_e32 v2, s68, v2
	v_lshrrev_b32_e32 v63, s68, v3
	s_delay_alu instid0(VALU_DEP_2) | instskip(NEXT) | instid1(VALU_DEP_2)
	v_mul_lo_u32 v3, v2, s64
	v_mul_lo_u32 v5, v63, s64
	v_sub_nc_u32_e32 v6, v2, v58
	v_sub_nc_u32_e32 v2, v63, v2
	s_delay_alu instid0(VALU_DEP_2)
	v_mul_lo_u32 v58, v6, s60
	v_sub_nc_u32_e32 v0, v0, v3
	v_add_nc_u32_e32 v3, v96, v4
	v_sub_nc_u32_e32 v4, v4, v62
	v_sub_nc_u32_e32 v43, v1, v5
	v_mul_lo_u32 v62, v2, s60
	v_sub_nc_u32_e32 v1, v0, v59
	v_sub_nc_u32_e32 v3, v42, v3
	v_add_nc_u32_e32 v4, v96, v4
	v_sub_nc_u32_e32 v5, v43, v0
	s_delay_alu instid0(VALU_DEP_4) | instskip(NEXT) | instid1(VALU_DEP_4)
	v_mul_lo_u32 v59, v1, s62
	v_mul_lo_u32 v0, v3, s39
	s_delay_alu instid0(VALU_DEP_4) | instskip(NEXT) | instid1(VALU_DEP_4)
	v_mad_u64_u32 v[1:2], null, v4, s39, v[34:35]
	v_mul_lo_u32 v97, v5, s62
	v_mul_lo_u32 v4, v58, s37
	v_add_nc_u32_e32 v58, v58, v61
	v_mul_lo_u32 v5, v59, s38
	v_add_nc_u32_e32 v32, v59, v60
	v_mad_u64_u32 v[2:3], null, v62, s37, v[0:1]
	v_mul_lo_u32 v0, v97, s38
	v_cmp_le_i32_e64 s6, s29, v58
	s_delay_alu instid0(VALU_DEP_4)
	v_add_nc_u32_e32 v60, v97, v32
	v_cmp_gt_i32_e64 s7, s28, v58
	v_add3_u32 v8, v1, v4, v5
	v_add_nc_u32_e32 v1, v49, v36
	v_add_nc_u32_e32 v4, v48, v36
	v_cmp_le_i32_e64 s10, s58, v32
	v_cmp_gt_i32_e64 s11, s59, v32
	v_add3_u32 v98, v2, v8, v0
	s_clause 0x1
	buffer_load_b128 v[0:3], v1, s[44:47], 0 offen
	buffer_load_b128 v[4:7], v4, s[44:47], 0 offen
	s_clause 0x1
	buffer_load_b128 v[8:11], v8, s[40:43], 0 offen
	buffer_load_b128 v[12:15], v98, s[40:43], 0 offen
	s_waitcnt vmcnt(0) lgkmcnt(0)
	s_waitcnt_vscnt null, 0x0
	s_barrier
	s_clause 0x3
	scratch_load_b32 v18, off, off offset:80
	scratch_load_b64 v[16:17], off, off offset:400
	scratch_load_b32 v22, off, off offset:112
	scratch_load_b64 v[20:21], off, off offset:416
	s_clause 0x3
	scratch_store_b128 off, v[38:41], off
	scratch_store_b128 off, v[38:41], off offset:16
	scratch_store_b128 off, v[38:41], off offset:32
	scratch_store_b128 off, v[38:41], off offset:48
	v_add_nc_u32_e32 v61, v62, v58
	v_add_nc_u32_e32 v100, s82, v48
	v_cmp_le_i32_e64 s12, s58, v60
	v_cmp_gt_i32_e64 s13, s59, v60
	s_and_b32 s6, s6, s7
	v_cmp_le_i32_e64 s8, s29, v61
	v_cmp_gt_i32_e64 s9, s28, v61
	v_cmp_gt_i32_e64 s14, s73, v100
	s_delay_alu instid0(VALU_DEP_2) | instskip(SKIP_2) | instid1(SALU_CYCLE_1)
	s_and_b32 s7, s8, s9
	s_and_b32 s8, s10, s11
	;; [unrolled: 1-line block ×4, first 2 shown]
	s_delay_alu instid0(SALU_CYCLE_1)
	s_and_b32 s4, s7, s4
	s_waitcnt vmcnt(3)
	v_ashrrev_i32_e32 v19, 31, v18
	s_waitcnt vmcnt(2)
	v_add_co_u32 v33, vcc_lo, v16, v18
	s_waitcnt vmcnt(1)
	v_ashrrev_i32_e32 v23, 31, v22
	v_add_co_ci_u32_e32 v34, vcc_lo, v17, v19, vcc_lo
	s_waitcnt vmcnt(0)
	v_add_co_u32 v24, vcc_lo, v20, v22
	s_delay_alu instid0(VALU_DEP_3) | instskip(SKIP_3) | instid1(SALU_CYCLE_1)
	v_add_co_ci_u32_e32 v25, vcc_lo, v21, v23, vcc_lo
	flat_load_b128 v[16:19], v[33:34]
	v_cmp_gt_i32_e32 vcc_lo, s71, v96
	s_and_b32 s8, vcc_lo, s8
	s_and_b32 s6, s6, s8
	s_waitcnt vmcnt(0) lgkmcnt(0)
	scratch_store_b128 off, v[16:19], off
	flat_load_b128 v[20:23], v[24:25]
	s_waitcnt vmcnt(0) lgkmcnt(0)
	scratch_store_b128 off, v[20:23], off offset:32
	flat_load_b128 v[24:27], v[24:25] offset:256
	s_clause 0x7
	scratch_load_b128 v[28:31], off, off offset:144
	scratch_load_b128 v[64:67], off, off offset:176
	;; [unrolled: 1-line block ×8, first 2 shown]
	s_waitcnt vmcnt(8) lgkmcnt(0)
	scratch_store_b128 off, v[24:27], off offset:48
	flat_load_b128 v[92:95], v[33:34] offset:256
	v_add_nc_u32_e32 v33, s82, v49
	v_mul_hi_u32 v34, s67, v55
	s_delay_alu instid0(VALU_DEP_2) | instskip(NEXT) | instid1(VALU_DEP_1)
	v_cmp_gt_i32_e64 s5, s73, v33
	s_and_b32 vcc_lo, s2, s5
	v_dual_cndmask_b32 v96, 0, v3 :: v_dual_cndmask_b32 v97, 0, v2
	v_dual_cndmask_b32 v100, 0, v1 :: v_dual_cndmask_b32 v101, 0, v0
	s_and_b32 vcc_lo, s2, s14
	s_waitcnt vmcnt(8)
	v_dot4_i32_iu8 v0, v16, v20, v28 neg_lo:[1,1,0]
	v_dual_cndmask_b32 v102, 0, v7 :: v_dual_cndmask_b32 v103, 0, v6
	v_dual_cndmask_b32 v104, 0, v5 :: v_dual_cndmask_b32 v105, 0, v4
	s_and_b32 vcc_lo, s3, s6
	v_dot4_i32_iu8 v1, v16, v21, v29 neg_lo:[1,1,0]
	v_dual_cndmask_b32 v58, 0, v11 :: v_dual_cndmask_b32 v59, 0, v10
	v_cndmask_b32_e32 v62, 0, v9, vcc_lo
	v_cndmask_b32_e32 v106, 0, v8, vcc_lo
	s_and_b32 vcc_lo, s3, s4
	v_dot4_i32_iu8 v2, v16, v22, v30 neg_lo:[1,1,0]
	v_dot4_i32_iu8 v3, v16, v23, v31 neg_lo:[1,1,0]
	v_dual_cndmask_b32 v107, 0, v15 :: v_dual_cndmask_b32 v108, 0, v14
	v_dual_cndmask_b32 v109, 0, v13 :: v_dual_cndmask_b32 v110, 0, v12
	s_waitcnt vmcnt(7)
	v_dot4_i32_iu8 v4, v17, v20, v64 neg_lo:[1,1,0]
	v_dot4_i32_iu8 v5, v17, v21, v65 neg_lo:[1,1,0]
	v_dot4_i32_iu8 v6, v17, v22, v66 neg_lo:[1,1,0]
	v_dot4_i32_iu8 v7, v17, v23, v67 neg_lo:[1,1,0]
	s_waitcnt vmcnt(6)
	v_dot4_i32_iu8 v8, v18, v20, v68 neg_lo:[1,1,0]
	v_dot4_i32_iu8 v9, v18, v21, v69 neg_lo:[1,1,0]
	v_dot4_i32_iu8 v10, v18, v22, v70 neg_lo:[1,1,0]
	v_dot4_i32_iu8 v11, v18, v23, v71 neg_lo:[1,1,0]
	;; [unrolled: 5-line block ×7, first 2 shown]
	s_clause 0x7
	scratch_store_b128 off, v[0:3], off offset:144
	scratch_store_b128 off, v[20:23], off offset:160
	scratch_store_b128 off, v[4:7], off offset:176
	scratch_store_b128 off, v[28:31], off offset:192
	scratch_store_b128 off, v[8:11], off offset:208
	scratch_store_b128 off, v[64:67], off offset:224
	scratch_store_b128 off, v[12:15], off offset:240
	scratch_store_b128 off, v[16:19], off offset:256
	s_waitcnt vmcnt(0) lgkmcnt(0)
	scratch_store_b128 off, v[92:95], off offset:16
	v_dual_mov_b32 v11, s27 :: v_dual_mov_b32 v0, s54
	v_dual_mov_b32 v1, s15 :: v_dual_mov_b32 v2, s61
	;; [unrolled: 1-line block ×6, first 2 shown]
	s_swappc_b64 s[30:31], s[22:23]
	s_clause 0xe
	scratch_load_b32 v76, off, off offset:16
	scratch_load_b32 v77, off, off offset:32
	scratch_load_b128 v[0:3], off, off offset:272
	scratch_load_b128 v[4:7], off, off offset:32
	;; [unrolled: 1-line block ×6, first 2 shown]
	scratch_load_b32 v8, off, off offset:48
	scratch_load_b128 v[24:27], off, off offset:288
	scratch_load_b128 v[28:31], off, off offset:48
	;; [unrolled: 1-line block ×5, first 2 shown]
	scratch_load_b64 v[32:33], off, off offset:432
	v_perm_b32 v78, v106, v106, 0x3020104
	v_perm_b32 v59, v59, v59, 0x3020104
	v_perm_b32 v79, v110, v110, 0x3020104
	v_perm_b32 v80, v108, v108, 0x3020104
	v_add_nc_u32_e32 v95, s24, v52
	v_add3_u32 v44, s84, s84, v44
	s_waitcnt vmcnt(12)
	v_dot4_i32_iu8 v0, v76, v77, v0 neg_lo:[1,1,0]
	s_waitcnt vmcnt(11)
	v_dot4_i32_iu8 v1, v76, v5, v1 neg_lo:[1,1,0]
	v_dot4_i32_iu8 v2, v76, v6, v2 neg_lo:[1,1,0]
	v_dot4_i32_iu8 v3, v76, v7, v3 neg_lo:[1,1,0]
	s_waitcnt vmcnt(9)
	v_dot4_i32_iu8 v13, v9, v5, v13 neg_lo:[1,1,0]
	v_dot4_i32_iu8 v14, v9, v6, v14 neg_lo:[1,1,0]
	;; [unrolled: 4-line block ×4, first 2 shown]
	v_dot4_i32_iu8 v6, v11, v6, v22 neg_lo:[1,1,0]
	v_dot4_i32_iu8 v7, v11, v7, v23 neg_lo:[1,1,0]
	s_waitcnt vmcnt(5)
	v_dot4_i32_iu8 v20, v76, v8, v24 neg_lo:[1,1,0]
	s_waitcnt vmcnt(4)
	v_dot4_i32_iu8 v21, v76, v29, v25 neg_lo:[1,1,0]
	v_dot4_i32_iu8 v22, v76, v30, v26 neg_lo:[1,1,0]
	;; [unrolled: 1-line block ×4, first 2 shown]
	s_waitcnt vmcnt(3)
	v_dot4_i32_iu8 v24, v9, v8, v64 neg_lo:[1,1,0]
	v_dot4_i32_iu8 v25, v9, v29, v65 neg_lo:[1,1,0]
	;; [unrolled: 1-line block ×4, first 2 shown]
	s_waitcnt vmcnt(0)
	v_add_co_u32 v28, vcc_lo, v32, v45
	v_dot4_i32_iu8 v16, v10, v77, v16 neg_lo:[1,1,0]
	v_dot4_i32_iu8 v64, v10, v8, v68 neg_lo:[1,1,0]
	;; [unrolled: 1-line block ×9, first 2 shown]
	v_add_co_ci_u32_e32 v29, vcc_lo, 0, v33, vcc_lo
	s_clause 0x7
	scratch_store_b128 off, v[0:3], off offset:272
	scratch_store_b128 off, v[20:23], off offset:288
	;; [unrolled: 1-line block ×8, first 2 shown]
	s_clause 0x7
	flat_store_b32 v[28:29], v78
	flat_store_b32 v[28:29], v62 offset:512
	flat_store_b32 v[28:29], v59 offset:1024
	;; [unrolled: 1-line block ×7, first 2 shown]
	scratch_load_b64 v[20:21], off, off offset:448
	v_add_nc_u32_e32 v62, s24, v53
	v_add_nc_u32_e32 v9, v47, v36
	v_add_nc_u32_e32 v12, v46, v36
	v_perm_b32 v8, v103, v103, 0x3020104
	s_delay_alu instid0(VALU_DEP_4) | instskip(NEXT) | instid1(VALU_DEP_1)
	v_add_nc_u32_e32 v0, v62, v34
	v_lshrrev_b32_e32 v3, s69, v0
	v_add_nc_u32_e32 v0, v95, v99
	s_delay_alu instid0(VALU_DEP_2) | instskip(NEXT) | instid1(VALU_DEP_2)
	v_mul_hi_u32 v1, v3, s66
	v_lshrrev_b32_e32 v99, s69, v0
	s_delay_alu instid0(VALU_DEP_1) | instskip(NEXT) | instid1(VALU_DEP_3)
	v_mul_hi_u32 v0, v99, s66
	v_add_nc_u32_e32 v1, v3, v1
	s_delay_alu instid0(VALU_DEP_1) | instskip(NEXT) | instid1(VALU_DEP_3)
	v_lshrrev_b32_e32 v4, s68, v1
	v_add_nc_u32_e32 v2, v99, v0
	v_mad_u64_u32 v[0:1], null, s88, v3, v[62:63]
	s_delay_alu instid0(VALU_DEP_3) | instskip(NEXT) | instid1(VALU_DEP_3)
	v_mul_lo_u32 v5, v4, s64
	v_lshrrev_b32_e32 v58, s68, v2
	v_mad_u64_u32 v[1:2], null, s88, v99, v[95:96]
	v_sub_nc_u32_e32 v6, v4, v63
	s_delay_alu instid0(VALU_DEP_3)
	v_mul_lo_u32 v2, v58, s64
	v_sub_nc_u32_e32 v3, v3, v5
	v_sub_nc_u32_e32 v5, v0, v42
	;; [unrolled: 1-line block ×3, first 2 shown]
	v_mul_lo_u32 v42, v6, s60
	v_perm_b32 v6, v97, v97, 0x3020104
	v_sub_nc_u32_e32 v7, v3, v43
	v_sub_nc_u32_e32 v59, v99, v2
	v_mul_lo_u32 v0, v5, s39
	v_mul_lo_u32 v1, v1, s39
	v_sub_nc_u32_e32 v2, v58, v4
	v_mul_lo_u32 v43, v7, s62
	v_sub_nc_u32_e32 v4, v59, v3
	v_perm_b32 v5, v101, v101, 0x3020104
	v_perm_b32 v7, v105, v105, 0x3020104
	v_mul_lo_u32 v106, v2, s60
	v_mad_u64_u32 v[2:3], null, v42, s37, v[0:1]
	v_mul_lo_u32 v107, v4, s62
	v_mul_lo_u32 v0, v43, s38
	s_delay_alu instid0(VALU_DEP_3) | instskip(NEXT) | instid1(VALU_DEP_3)
	v_mad_u64_u32 v[3:4], null, v106, s37, v[1:2]
	v_mul_lo_u32 v4, v107, s38
	s_delay_alu instid0(VALU_DEP_3) | instskip(NEXT) | instid1(VALU_DEP_1)
	v_add3_u32 v2, v2, v0, v98
	v_add3_u32 v34, v3, v4, v2
	s_waitcnt vmcnt(0)
	v_add_co_u32 v0, vcc_lo, v20, v45
	v_add_co_ci_u32_e32 v1, vcc_lo, 0, v21, vcc_lo
	s_clause 0x7
	flat_store_b32 v[0:1], v5
	flat_store_b32 v[0:1], v100 offset:512
	flat_store_b32 v[0:1], v6 offset:1024
	;; [unrolled: 1-line block ×7, first 2 shown]
	s_clause 0x1
	buffer_load_b128 v[0:3], v2, s[40:43], 0 offen
	buffer_load_b128 v[4:7], v34, s[40:43], 0 offen
	s_clause 0x1
	buffer_load_b128 v[8:11], v9, s[44:47], 0 offen
	buffer_load_b128 v[12:15], v12, s[44:47], 0 offen
	s_waitcnt vmcnt(0) lgkmcnt(0)
	s_waitcnt_vscnt null, 0x0
	s_barrier
	s_clause 0x1
	scratch_load_b32 v16, off, off offset:80
	scratch_load_b32 v22, off, off offset:112
	s_clause 0x3
	scratch_store_b128 off, v[38:41], off
	scratch_store_b128 off, v[38:41], off offset:16
	scratch_store_b128 off, v[38:41], off offset:32
	;; [unrolled: 1-line block ×3, first 2 shown]
	v_add_nc_u32_e32 v42, v42, v61
	s_delay_alu instid0(VALU_DEP_1) | instskip(SKIP_2) | instid1(VALU_DEP_3)
	v_add_nc_u32_e32 v61, v106, v42
	v_cmp_le_i32_e64 s7, s29, v42
	v_cmp_gt_i32_e64 s8, s28, v42
	v_cmp_le_i32_e64 s9, s29, v61
	v_cmp_gt_i32_e64 s10, s28, v61
	s_delay_alu instid0(VALU_DEP_3) | instskip(NEXT) | instid1(VALU_DEP_1)
	s_and_b32 s7, s7, s8
	s_and_b32 s8, s9, s10
	s_waitcnt vmcnt(1)
	v_ashrrev_i32_e32 v17, 31, v16
	v_add_co_u32 v32, vcc_lo, v32, v16
	s_waitcnt vmcnt(0)
	v_ashrrev_i32_e32 v23, 31, v22
	s_delay_alu instid0(VALU_DEP_3) | instskip(SKIP_1) | instid1(VALU_DEP_3)
	v_add_co_ci_u32_e32 v33, vcc_lo, v33, v17, vcc_lo
	v_add_co_u32 v24, vcc_lo, v20, v22
	v_add_co_ci_u32_e32 v25, vcc_lo, v21, v23, vcc_lo
	flat_load_b128 v[16:19], v[32:33]
	v_cmp_gt_i32_e32 vcc_lo, s71, v62
	s_waitcnt vmcnt(0) lgkmcnt(0)
	scratch_store_b128 off, v[16:19], off
	flat_load_b128 v[20:23], v[24:25]
	s_waitcnt vmcnt(0) lgkmcnt(0)
	scratch_store_b128 off, v[20:23], off offset:32
	flat_load_b128 v[24:27], v[24:25] offset:256
	s_clause 0x7
	scratch_load_b128 v[28:31], off, off offset:144
	scratch_load_b128 v[63:66], off, off offset:176
	;; [unrolled: 1-line block ×8, first 2 shown]
	s_waitcnt vmcnt(8) lgkmcnt(0)
	scratch_store_b128 off, v[24:27], off offset:48
	flat_load_b128 v[91:94], v[32:33] offset:256
	v_add_nc_u32_e32 v32, s82, v47
	s_delay_alu instid0(VALU_DEP_1) | instskip(SKIP_1) | instid1(VALU_DEP_1)
	v_cmp_gt_i32_e64 s5, s73, v32
	v_add_nc_u32_e32 v32, v43, v60
	v_cmp_le_i32_e64 s11, s58, v32
	v_cmp_gt_i32_e64 s12, s59, v32
	v_add_nc_u32_e32 v60, v107, v32
	s_delay_alu instid0(VALU_DEP_2) | instskip(NEXT) | instid1(VALU_DEP_1)
	s_and_b32 s9, s11, s12
	v_cmp_le_i32_e64 s13, s58, v60
	s_and_b32 s9, vcc_lo, s9
	v_cmp_gt_i32_e64 s14, s59, v60
	s_and_b32 s7, s7, s9
	s_delay_alu instid0(SALU_CYCLE_1)
	s_and_b32 vcc_lo, s3, s7
	v_cndmask_b32_e32 v42, 0, v3, vcc_lo
	v_cmp_gt_i32_e64 s4, s71, v95
	s_and_b32 s10, s13, s14
	v_cndmask_b32_e32 v43, 0, v2, vcc_lo
	v_dual_cndmask_b32 v95, 0, v1 :: v_dual_cndmask_b32 v96, 0, v0
	s_delay_alu instid0(VALU_DEP_3)
	s_and_b32 s4, s4, s10
	s_waitcnt vmcnt(8)
	v_dot4_i32_iu8 v0, v16, v20, v28 neg_lo:[1,1,0]
	s_and_b32 s4, s8, s4
	v_dot4_i32_iu8 v1, v16, v21, v29 neg_lo:[1,1,0]
	s_and_b32 vcc_lo, s3, s4
	v_dual_cndmask_b32 v100, 0, v4 :: v_dual_add_nc_u32 v33, s82, v46
	v_dual_cndmask_b32 v97, 0, v7 :: v_dual_cndmask_b32 v98, 0, v6
	v_dot4_i32_iu8 v2, v16, v22, v30 neg_lo:[1,1,0]
	s_delay_alu instid0(VALU_DEP_3)
	v_cmp_gt_i32_e64 s6, s73, v33
	v_mul_lo_u32 v33, v99, s65
	v_cndmask_b32_e32 v99, 0, v5, vcc_lo
	s_and_b32 vcc_lo, s2, s5
	v_dot4_i32_iu8 v3, v16, v23, v31 neg_lo:[1,1,0]
	v_dual_cndmask_b32 v101, 0, v11 :: v_dual_cndmask_b32 v102, 0, v10
	v_dual_cndmask_b32 v103, 0, v9 :: v_dual_cndmask_b32 v104, 0, v8
	s_and_b32 vcc_lo, s2, s6
	s_waitcnt vmcnt(7)
	v_dot4_i32_iu8 v4, v17, v20, v63 neg_lo:[1,1,0]
	v_dual_cndmask_b32 v105, 0, v15 :: v_dual_cndmask_b32 v106, 0, v14
	v_dual_cndmask_b32 v107, 0, v13 :: v_dual_cndmask_b32 v108, 0, v12
	v_dot4_i32_iu8 v5, v17, v21, v64 neg_lo:[1,1,0]
	v_dot4_i32_iu8 v6, v17, v22, v65 neg_lo:[1,1,0]
	v_dot4_i32_iu8 v7, v17, v23, v66 neg_lo:[1,1,0]
	s_waitcnt vmcnt(6)
	v_dot4_i32_iu8 v8, v18, v20, v67 neg_lo:[1,1,0]
	v_dot4_i32_iu8 v9, v18, v21, v68 neg_lo:[1,1,0]
	v_dot4_i32_iu8 v10, v18, v22, v69 neg_lo:[1,1,0]
	v_dot4_i32_iu8 v11, v18, v23, v70 neg_lo:[1,1,0]
	s_waitcnt vmcnt(5)
	v_dot4_i32_iu8 v12, v19, v20, v71 neg_lo:[1,1,0]
	;; [unrolled: 5-line block ×6, first 2 shown]
	v_dot4_i32_iu8 v17, v19, v25, v88 neg_lo:[1,1,0]
	v_dot4_i32_iu8 v18, v19, v26, v89 neg_lo:[1,1,0]
	;; [unrolled: 1-line block ×3, first 2 shown]
	v_sub_nc_u32_e32 v62, v44, v33
	s_clause 0x7
	scratch_store_b128 off, v[0:3], off offset:144
	scratch_store_b128 off, v[20:23], off offset:160
	;; [unrolled: 1-line block ×8, first 2 shown]
	s_waitcnt vmcnt(0) lgkmcnt(0)
	scratch_store_b128 off, v[91:94], off offset:16
	v_dual_mov_b32 v7, s81 :: v_dual_mov_b32 v0, s54
	v_mov_b32_e32 v9, s63
	v_dual_mov_b32 v1, s15 :: v_dual_mov_b32 v2, s74
	v_mov_b32_e32 v11, s79
	v_dual_mov_b32 v3, s78 :: v_dual_mov_b32 v4, s76
	v_dual_mov_b32 v5, s80 :: v_dual_mov_b32 v6, s77
	v_mov_b32_e32 v8, s19
	v_mov_b32_e32 v10, s75
	s_swappc_b64 s[30:31], s[22:23]
	s_clause 0xe
	scratch_load_b32 v75, off, off offset:16
	scratch_load_b32 v76, off, off offset:32
	scratch_load_b128 v[0:3], off, off offset:272
	scratch_load_b128 v[4:7], off, off offset:32
	scratch_load_b128 v[8:11], off, off offset:16
	scratch_load_b128 v[12:15], off, off offset:304
	scratch_load_b128 v[16:19], off, off offset:336
	scratch_load_b128 v[20:23], off, off offset:368
	scratch_load_b32 v8, off, off offset:48
	scratch_load_b128 v[24:27], off, off offset:288
	scratch_load_b128 v[28:31], off, off offset:48
	;; [unrolled: 1-line block ×5, first 2 shown]
	scratch_load_b64 v[32:33], off, off offset:400
	v_perm_b32 v77, v96, v96, 0x3020104
	v_perm_b32 v43, v43, v43, 0x3020104
	v_perm_b32 v78, v100, v100, 0x3020104
	v_perm_b32 v79, v98, v98, 0x3020104
	v_add_nc_u32_e32 v36, s86, v36
	v_add_nc_u32_e32 v57, s87, v57
	;; [unrolled: 1-line block ×5, first 2 shown]
	s_add_i32 s83, s83, 32
	s_add_i32 s82, s82, s86
	;; [unrolled: 1-line block ×3, first 2 shown]
	s_cmp_lt_i32 s83, s85
	s_waitcnt vmcnt(12)
	v_dot4_i32_iu8 v0, v75, v76, v0 neg_lo:[1,1,0]
	s_waitcnt vmcnt(11)
	v_dot4_i32_iu8 v1, v75, v5, v1 neg_lo:[1,1,0]
	v_dot4_i32_iu8 v2, v75, v6, v2 neg_lo:[1,1,0]
	v_dot4_i32_iu8 v3, v75, v7, v3 neg_lo:[1,1,0]
	s_waitcnt vmcnt(9)
	v_dot4_i32_iu8 v13, v9, v5, v13 neg_lo:[1,1,0]
	v_dot4_i32_iu8 v14, v9, v6, v14 neg_lo:[1,1,0]
	;; [unrolled: 4-line block ×4, first 2 shown]
	v_dot4_i32_iu8 v6, v11, v6, v22 neg_lo:[1,1,0]
	v_dot4_i32_iu8 v7, v11, v7, v23 neg_lo:[1,1,0]
	s_waitcnt vmcnt(5)
	v_dot4_i32_iu8 v20, v75, v8, v24 neg_lo:[1,1,0]
	s_waitcnt vmcnt(4)
	v_dot4_i32_iu8 v21, v75, v29, v25 neg_lo:[1,1,0]
	v_dot4_i32_iu8 v22, v75, v30, v26 neg_lo:[1,1,0]
	;; [unrolled: 1-line block ×4, first 2 shown]
	s_waitcnt vmcnt(3)
	v_dot4_i32_iu8 v24, v9, v8, v63 neg_lo:[1,1,0]
	v_dot4_i32_iu8 v25, v9, v29, v64 neg_lo:[1,1,0]
	;; [unrolled: 1-line block ×4, first 2 shown]
	s_waitcnt vmcnt(0)
	v_add_co_u32 v28, vcc_lo, v32, v45
	v_dot4_i32_iu8 v16, v10, v76, v16 neg_lo:[1,1,0]
	v_dot4_i32_iu8 v63, v10, v8, v67 neg_lo:[1,1,0]
	;; [unrolled: 1-line block ×9, first 2 shown]
	v_add_co_ci_u32_e32 v29, vcc_lo, 0, v33, vcc_lo
	s_clause 0x7
	scratch_store_b128 off, v[0:3], off offset:272
	scratch_store_b128 off, v[20:23], off offset:288
	scratch_store_b128 off, v[12:15], off offset:304
	scratch_store_b128 off, v[24:27], off offset:320
	scratch_store_b128 off, v[16:19], off offset:336
	scratch_store_b128 off, v[63:66], off offset:352
	scratch_store_b128 off, v[4:7], off offset:368
	scratch_store_b128 off, v[8:11], off offset:384
	s_clause 0x7
	flat_store_b32 v[28:29], v77
	flat_store_b32 v[28:29], v95 offset:512
	flat_store_b32 v[28:29], v43 offset:1024
	;; [unrolled: 1-line block ×7, first 2 shown]
	scratch_load_b64 v[0:1], off, off offset:416
	v_perm_b32 v2, v104, v104, 0x3020104
	v_perm_b32 v3, v102, v102, 0x3020104
	;; [unrolled: 1-line block ×4, first 2 shown]
	s_waitcnt vmcnt(0)
	v_add_co_u32 v0, vcc_lo, v0, v45
	v_add_co_ci_u32_e32 v1, vcc_lo, 0, v1, vcc_lo
	s_clause 0x7
	flat_store_b32 v[0:1], v2
	flat_store_b32 v[0:1], v103 offset:512
	flat_store_b32 v[0:1], v3 offset:1024
	flat_store_b32 v[0:1], v101 offset:1536
	flat_store_b32 v[0:1], v4 offset:2048
	flat_store_b32 v[0:1], v107 offset:2560
	flat_store_b32 v[0:1], v5 offset:3072
	flat_store_b32 v[0:1], v105 offset:3584
	s_cbranch_scc1 .LBB7_1
; %bb.2:
	s_waitcnt lgkmcnt(0)
	s_waitcnt_vscnt null, 0x0
	s_barrier
	buffer_gl0_inv
	s_clause 0x1
	scratch_load_b32 v8, off, off offset:80
	scratch_load_b64 v[4:5], off, off offset:400
	s_mov_b32 s4, 0
	s_clause 0x1
	scratch_load_b32 v9, off, off offset:112
	scratch_load_b64 v[6:7], off, off offset:416
	s_mov_b32 s5, s4
	s_mov_b32 s6, s4
	;; [unrolled: 1-line block ×3, first 2 shown]
	v_dual_mov_b32 v0, s4 :: v_dual_mov_b32 v1, s5
	v_dual_mov_b32 v2, s6 :: v_dual_mov_b32 v3, s7
	s_clause 0x3
	scratch_store_b128 off, v[0:3], off
	scratch_store_b128 off, v[0:3], off offset:16
	scratch_store_b128 off, v[0:3], off offset:32
	;; [unrolled: 1-line block ×3, first 2 shown]
	s_load_b64 s[0:1], s[0:1], 0x10
	s_mul_i32 s2, s20, s55
	s_mul_hi_u32 s3, s20, s25
	s_add_u32 s16, s56, s16
	s_addc_u32 s17, s57, s17
	s_add_i32 s6, s3, s2
	s_mov_b64 s[2:3], src_private_base
	s_mul_i32 s4, s21, s25
	s_mul_i32 s5, s20, s25
	s_add_i32 s6, s6, s4
	s_waitcnt lgkmcnt(0)
	s_add_u32 s24, s0, s5
	s_addc_u32 s25, s1, s6
	s_waitcnt vmcnt(3)
	v_ashrrev_i32_e32 v10, 31, v8
	s_waitcnt vmcnt(2)
	v_add_co_u32 v32, vcc_lo, v4, v8
	s_waitcnt vmcnt(1)
	v_ashrrev_i32_e32 v4, 31, v9
	v_add_co_ci_u32_e32 v33, vcc_lo, v5, v10, vcc_lo
	s_waitcnt vmcnt(0)
	v_add_co_u32 v8, vcc_lo, v6, v9
	s_delay_alu instid0(VALU_DEP_3)
	v_add_co_ci_u32_e32 v9, vcc_lo, v7, v4, vcc_lo
	flat_load_b128 v[0:3], v[32:33]
	s_waitcnt vmcnt(0) lgkmcnt(0)
	scratch_store_b128 off, v[0:3], off
	flat_load_b128 v[4:7], v[8:9]
	s_waitcnt vmcnt(0) lgkmcnt(0)
	scratch_store_b128 off, v[4:7], off offset:32
	flat_load_b128 v[8:11], v[8:9] offset:256
	s_clause 0x7
	scratch_load_b128 v[12:15], off, off offset:144
	scratch_load_b128 v[16:19], off, off offset:176
	;; [unrolled: 1-line block ×8, first 2 shown]
	s_waitcnt vmcnt(8) lgkmcnt(0)
	scratch_store_b128 off, v[8:11], off offset:48
	flat_load_b128 v[50:53], v[32:33] offset:256
	s_waitcnt vmcnt(8)
	v_dot4_i32_iu8 v12, v0, v4, v12 neg_lo:[1,1,0]
	v_dot4_i32_iu8 v13, v0, v5, v13 neg_lo:[1,1,0]
	v_dot4_i32_iu8 v14, v0, v6, v14 neg_lo:[1,1,0]
	v_dot4_i32_iu8 v15, v0, v7, v15 neg_lo:[1,1,0]
	s_waitcnt vmcnt(7)
	v_dot4_i32_iu8 v16, v1, v4, v16 neg_lo:[1,1,0]
	v_dot4_i32_iu8 v17, v1, v5, v17 neg_lo:[1,1,0]
	v_dot4_i32_iu8 v18, v1, v6, v18 neg_lo:[1,1,0]
	v_dot4_i32_iu8 v19, v1, v7, v19 neg_lo:[1,1,0]
	;; [unrolled: 5-line block ×8, first 2 shown]
	v_mov_b32_e32 v8, s19
	v_dual_mov_b32 v10, s53 :: v_dual_mov_b32 v11, s27
	s_clause 0x7
	scratch_store_b128 off, v[12:15], off offset:144
	scratch_store_b128 off, v[24:27], off offset:160
	;; [unrolled: 1-line block ×8, first 2 shown]
	s_waitcnt vmcnt(0) lgkmcnt(0)
	scratch_store_b128 off, v[50:53], off offset:16
	v_dual_mov_b32 v0, s54 :: v_dual_mov_b32 v1, s15
	v_dual_mov_b32 v2, s61 :: v_dual_mov_b32 v3, s70
	;; [unrolled: 1-line block ×4, first 2 shown]
	v_mov_b32_e32 v7, s3
	s_swappc_b64 s[30:31], s[22:23]
	s_clause 0xd
	scratch_load_b32 v36, off, off offset:16
	scratch_load_b32 v62, off, off offset:32
	scratch_load_b128 v[0:3], off, off offset:272
	scratch_load_b128 v[4:7], off, off offset:32
	;; [unrolled: 1-line block ×6, first 2 shown]
	scratch_load_b32 v38, off, off offset:48
	scratch_load_b128 v[28:31], off, off offset:288
	scratch_load_b128 v[42:45], off, off offset:48
	scratch_load_b128 v[46:49], off, off offset:320
	scratch_load_b128 v[54:57], off, off offset:352
	scratch_load_b128 v[58:61], off, off offset:384
	v_lshl_add_u32 v53, s51, 7, v35
	v_lshl_add_u32 v52, s52, 7, v37
	s_mov_b32 s27, 0x31004000
	s_lshl_b32 s3, s35, 6
	s_lshl_b32 s12, s49, 6
	s_waitcnt vmcnt(10)
	v_mul_lo_u32 v4, v53, s34
	v_cmp_gt_i32_e64 s0, s72, v52
	v_cmp_gt_i32_e64 s1, s33, v53
	s_add_i32 s2, s3, s34
	v_or_b32_e32 v68, 2, v53
	v_or_b32_e32 v69, 3, v53
	s_add_i32 s14, s49, s48
	s_and_b32 vcc_lo, s1, s0
	s_mov_b32 s19, s27
	s_lshl_b32 s13, s48, 6
	v_dot4_i32_iu8 v32, v36, v62, v0 neg_lo:[1,1,0]
	v_mad_u64_u32 v[50:51], null, v52, s35, v[4:5]
	v_dot4_i32_iu8 v33, v36, v5, v1 neg_lo:[1,1,0]
	v_dot4_i32_iu8 v34, v36, v6, v2 neg_lo:[1,1,0]
	;; [unrolled: 1-line block ×3, first 2 shown]
	s_waitcnt vmcnt(4)
	v_dot4_i32_iu8 v28, v36, v38, v28 neg_lo:[1,1,0]
	s_waitcnt vmcnt(3)
	v_dot4_i32_iu8 v29, v36, v43, v29 neg_lo:[1,1,0]
	v_dot4_i32_iu8 v30, v36, v44, v30 neg_lo:[1,1,0]
	;; [unrolled: 1-line block ×11, first 2 shown]
	s_waitcnt vmcnt(2)
	v_dot4_i32_iu8 v20, v39, v38, v46 neg_lo:[1,1,0]
	v_dot4_i32_iu8 v21, v39, v43, v47 neg_lo:[1,1,0]
	v_dot4_i32_iu8 v22, v39, v44, v48 neg_lo:[1,1,0]
	v_dot4_i32_iu8 v23, v39, v45, v49 neg_lo:[1,1,0]
	v_dot4_i32_iu8 v16, v40, v62, v12 neg_lo:[1,1,0]
	v_dot4_i32_iu8 v17, v40, v5, v13 neg_lo:[1,1,0]
	v_dot4_i32_iu8 v18, v40, v6, v14 neg_lo:[1,1,0]
	v_dot4_i32_iu8 v19, v40, v7, v15 neg_lo:[1,1,0]
	s_waitcnt vmcnt(1)
	v_dot4_i32_iu8 v12, v40, v38, v54 neg_lo:[1,1,0]
	v_dot4_i32_iu8 v13, v40, v43, v55 neg_lo:[1,1,0]
	v_dot4_i32_iu8 v14, v40, v44, v56 neg_lo:[1,1,0]
	v_dot4_i32_iu8 v15, v40, v45, v57 neg_lo:[1,1,0]
	s_waitcnt vmcnt(0)
	v_dot4_i32_iu8 v4, v41, v38, v58 neg_lo:[1,1,0]
	v_dot4_i32_iu8 v5, v41, v43, v59 neg_lo:[1,1,0]
	;; [unrolled: 1-line block ×4, first 2 shown]
	s_clause 0x7
	scratch_store_b128 off, v[32:35], off offset:272
	scratch_store_b128 off, v[28:31], off offset:288
	;; [unrolled: 1-line block ×8, first 2 shown]
	buffer_load_b32 v36, v50, s[24:27], 0 offen
	scratch_load_b128 v[0:3], off, off offset:144
	v_or_b32_e32 v55, 1, v53
	s_waitcnt vmcnt(1)
	v_cndmask_b32_e32 v40, 0, v36, vcc_lo
	scratch_load_b128 v[36:39], off, off offset:160
	v_lshrrev_b32_e32 v41, 8, v40
	s_waitcnt vmcnt(1)
	s_delay_alu instid0(VALU_DEP_1) | instskip(NEXT) | instid1(VALU_DEP_1)
	v_add_nc_u16 v1, v41, v1
	v_bfe_i32 v1, v1, 0, 8
	s_delay_alu instid0(VALU_DEP_1) | instskip(NEXT) | instid1(VALU_DEP_1)
	v_max_i16 v1, v1, 0
	v_and_b32_e32 v1, 0xffff, v1
	v_lshrrev_b32_e32 v42, 16, v40
	v_lshrrev_b32_e32 v43, 24, v40
	v_add_nc_u16 v0, v40, v0
	v_add_nc_u32_e32 v40, s3, v50
	s_delay_alu instid0(VALU_DEP_4) | instskip(NEXT) | instid1(VALU_DEP_4)
	v_add_nc_u16 v2, v42, v2
	v_add_nc_u16 v3, v43, v3
	s_delay_alu instid0(VALU_DEP_4) | instskip(NEXT) | instid1(VALU_DEP_3)
	v_bfe_i32 v0, v0, 0, 8
	v_bfe_i32 v2, v2, 0, 8
	s_delay_alu instid0(VALU_DEP_3) | instskip(NEXT) | instid1(VALU_DEP_3)
	v_bfe_i32 v3, v3, 0, 8
	v_max_i16 v0, v0, 0
	s_delay_alu instid0(VALU_DEP_3) | instskip(NEXT) | instid1(VALU_DEP_3)
	v_max_i16 v54, v2, 0
	v_max_i16 v3, v3, 0
	s_delay_alu instid0(VALU_DEP_3) | instskip(NEXT) | instid1(VALU_DEP_3)
	v_and_b32_e32 v0, 0xffff, v0
	v_and_b32_e32 v2, 0xffff, v54
	s_delay_alu instid0(VALU_DEP_3) | instskip(SKIP_3) | instid1(VALU_DEP_1)
	v_and_b32_e32 v3, 0xffff, v3
	scratch_store_b128 off, v[0:3], off offset:144
	buffer_load_b32 v41, v40, s[24:27], 0 offen
	v_add_nc_u32_e32 v2, 64, v52
	v_cmp_gt_i32_e32 vcc_lo, s72, v2
	s_and_b32 s1, s1, vcc_lo
	s_waitcnt vmcnt(0)
	v_cndmask_b32_e64 v41, 0, v41, s1
	s_lshl_b32 s1, s35, 7
	s_delay_alu instid0(SALU_CYCLE_1) | instskip(SKIP_1) | instid1(VALU_DEP_2)
	s_sub_i32 s4, s2, s1
	v_cmp_gt_i32_e64 s1, s33, v55
	v_lshrrev_b32_e32 v42, 8, v41
	v_lshrrev_b32_e32 v43, 16, v41
	;; [unrolled: 1-line block ×3, first 2 shown]
	v_add_nc_u16 v36, v41, v36
	s_and_b32 s2, s1, s0
	v_add_nc_u16 v37, v42, v37
	v_add_nc_u16 v38, v43, v38
	v_add_nc_u16 v39, v44, v39
	v_bfe_i32 v36, v36, 0, 8
	v_add_nc_u32_e32 v44, s4, v40
	v_bfe_i32 v37, v37, 0, 8
	v_bfe_i32 v38, v38, 0, 8
	;; [unrolled: 1-line block ×3, first 2 shown]
	v_max_i16 v36, v36, 0
	scratch_load_b128 v[40:43], off, off offset:176
	v_max_i16 v37, v37, 0
	v_max_i16 v38, v38, 0
	;; [unrolled: 1-line block ×3, first 2 shown]
	v_and_b32_e32 v36, 0xffff, v36
	s_and_b32 s1, s1, vcc_lo
	v_and_b32_e32 v37, 0xffff, v37
	v_and_b32_e32 v38, 0xffff, v38
	;; [unrolled: 1-line block ×3, first 2 shown]
	scratch_store_b128 off, v[36:39], off offset:160
	buffer_load_b32 v36, v44, s[24:27], 0 offen
	s_waitcnt vmcnt(0)
	v_cndmask_b32_e64 v45, 0, v36, s2
	scratch_load_b128 v[36:39], off, off offset:160
	v_lshrrev_b32_e32 v46, 8, v45
	v_lshrrev_b32_e32 v47, 16, v45
	;; [unrolled: 1-line block ×3, first 2 shown]
	v_add_nc_u16 v40, v45, v40
	s_delay_alu instid0(VALU_DEP_4) | instskip(NEXT) | instid1(VALU_DEP_4)
	v_add_nc_u16 v41, v46, v41
	v_add_nc_u16 v42, v47, v42
	s_delay_alu instid0(VALU_DEP_4) | instskip(NEXT) | instid1(VALU_DEP_4)
	v_add_nc_u16 v43, v48, v43
	v_bfe_i32 v40, v40, 0, 8
	v_add_nc_u32_e32 v48, s3, v44
	v_bfe_i32 v41, v41, 0, 8
	v_bfe_i32 v42, v42, 0, 8
	;; [unrolled: 1-line block ×3, first 2 shown]
	v_max_i16 v40, v40, 0
	scratch_load_b128 v[44:47], off, off offset:192
	v_max_i16 v41, v41, 0
	v_max_i16 v42, v42, 0
	;; [unrolled: 1-line block ×3, first 2 shown]
	v_and_b32_e32 v40, 0xffff, v40
	s_delay_alu instid0(VALU_DEP_4) | instskip(NEXT) | instid1(VALU_DEP_4)
	v_and_b32_e32 v41, 0xffff, v41
	v_and_b32_e32 v42, 0xffff, v42
	s_delay_alu instid0(VALU_DEP_4)
	v_and_b32_e32 v43, 0xffff, v43
	scratch_store_b128 off, v[40:43], off offset:176
	buffer_load_b32 v40, v48, s[24:27], 0 offen
	s_waitcnt vmcnt(2)
	v_lshlrev_b32_e32 v37, 8, v37
	v_lshlrev_b32_e32 v38, 16, v38
	v_lshlrev_b32_e32 v39, 24, v39
	s_delay_alu instid0(VALU_DEP_3) | instskip(NEXT) | instid1(VALU_DEP_3)
	v_perm_b32 v36, v37, v36, 0xc0c0500
	v_and_b32_e32 v37, 0xff0000, v38
	s_waitcnt vmcnt(0)
	v_cndmask_b32_e64 v49, 0, v40, s1
	scratch_load_b128 v[40:43], off, off offset:176
	v_cmp_gt_i32_e64 s1, s33, v68
	v_lshrrev_b32_e32 v50, 8, v49
	v_lshrrev_b32_e32 v51, 16, v49
	;; [unrolled: 1-line block ×3, first 2 shown]
	v_add_nc_u16 v44, v49, v44
	s_and_b32 s2, s1, s0
	v_add_nc_u16 v45, v50, v45
	v_add_nc_u16 v46, v51, v46
	;; [unrolled: 1-line block ×3, first 2 shown]
	v_bfe_i32 v44, v44, 0, 8
	v_add_nc_u32_e32 v56, s4, v48
	v_bfe_i32 v45, v45, 0, 8
	v_bfe_i32 v46, v46, 0, 8
	;; [unrolled: 1-line block ×3, first 2 shown]
	v_max_i16 v44, v44, 0
	scratch_load_b128 v[48:51], off, off offset:208
	v_max_i16 v45, v45, 0
	v_max_i16 v46, v46, 0
	;; [unrolled: 1-line block ×3, first 2 shown]
	v_and_b32_e32 v44, 0xffff, v44
	s_and_b32 s1, s1, vcc_lo
	v_and_b32_e32 v45, 0xffff, v45
	v_and_b32_e32 v46, 0xffff, v46
	;; [unrolled: 1-line block ×3, first 2 shown]
	scratch_store_b128 off, v[44:47], off offset:192
	buffer_load_b32 v44, v56, s[24:27], 0 offen
	s_waitcnt vmcnt(2)
	v_lshlrev_b32_e32 v41, 8, v41
	v_lshlrev_b32_e32 v42, 16, v42
	s_waitcnt vmcnt(0)
	v_cndmask_b32_e64 v57, 0, v44, s2
	scratch_load_b128 v[44:47], off, off offset:192
	v_lshrrev_b32_e32 v58, 8, v57
	v_lshrrev_b32_e32 v59, 16, v57
	;; [unrolled: 1-line block ×3, first 2 shown]
	v_add_nc_u16 v48, v57, v48
	s_delay_alu instid0(VALU_DEP_4) | instskip(NEXT) | instid1(VALU_DEP_4)
	v_add_nc_u16 v49, v58, v49
	v_add_nc_u16 v50, v59, v50
	s_delay_alu instid0(VALU_DEP_4) | instskip(NEXT) | instid1(VALU_DEP_4)
	v_add_nc_u16 v51, v60, v51
	v_bfe_i32 v48, v48, 0, 8
	v_add_nc_u32_e32 v60, s3, v56
	v_bfe_i32 v49, v49, 0, 8
	v_bfe_i32 v50, v50, 0, 8
	;; [unrolled: 1-line block ×3, first 2 shown]
	v_max_i16 v48, v48, 0
	scratch_load_b128 v[56:59], off, off offset:224
	v_max_i16 v49, v49, 0
	v_max_i16 v50, v50, 0
	;; [unrolled: 1-line block ×3, first 2 shown]
	v_and_b32_e32 v48, 0xffff, v48
	s_delay_alu instid0(VALU_DEP_4) | instskip(NEXT) | instid1(VALU_DEP_4)
	v_and_b32_e32 v49, 0xffff, v49
	v_and_b32_e32 v50, 0xffff, v50
	s_delay_alu instid0(VALU_DEP_4)
	v_and_b32_e32 v51, 0xffff, v51
	scratch_store_b128 off, v[48:51], off offset:208
	buffer_load_b32 v48, v60, s[24:27], 0 offen
	s_waitcnt vmcnt(0)
	v_cndmask_b32_e64 v61, 0, v48, s1
	scratch_load_b128 v[48:51], off, off offset:208
	v_cmp_gt_i32_e64 s1, s33, v69
	v_lshrrev_b32_e32 v62, 8, v61
	v_lshrrev_b32_e32 v63, 16, v61
	;; [unrolled: 1-line block ×3, first 2 shown]
	v_add_nc_u16 v56, v61, v56
	s_and_b32 s2, s1, s0
	v_add_nc_u16 v57, v62, v57
	v_add_nc_u16 v58, v63, v58
	;; [unrolled: 1-line block ×3, first 2 shown]
	v_bfe_i32 v56, v56, 0, 8
	v_add_nc_u32_e32 v64, s4, v60
	v_bfe_i32 v57, v57, 0, 8
	v_bfe_i32 v58, v58, 0, 8
	;; [unrolled: 1-line block ×3, first 2 shown]
	v_max_i16 v56, v56, 0
	s_and_b32 s1, s1, vcc_lo
	v_max_i16 v57, v57, 0
	v_max_i16 v58, v58, 0
	;; [unrolled: 1-line block ×3, first 2 shown]
	v_and_b32_e32 v56, 0xffff, v56
	s_delay_alu instid0(VALU_DEP_4) | instskip(NEXT) | instid1(VALU_DEP_4)
	v_and_b32_e32 v57, 0xffff, v57
	v_and_b32_e32 v58, 0xffff, v58
	s_delay_alu instid0(VALU_DEP_4)
	v_and_b32_e32 v59, 0xffff, v59
	scratch_store_b128 off, v[56:59], off offset:224
	buffer_load_b32 v60, v64, s[24:27], 0 offen
	scratch_load_b128 v[56:59], off, off offset:240
	s_waitcnt vmcnt(1)
	v_cndmask_b32_e64 v65, 0, v60, s2
	scratch_load_b128 v[60:63], off, off offset:224
	v_lshrrev_b32_e32 v66, 8, v65
	v_lshrrev_b32_e32 v67, 16, v65
	;; [unrolled: 1-line block ×3, first 2 shown]
	s_waitcnt vmcnt(1)
	v_add_nc_u16 v56, v65, v56
	v_add_nc_u16 v57, v66, v57
	;; [unrolled: 1-line block ×4, first 2 shown]
	s_delay_alu instid0(VALU_DEP_4)
	v_bfe_i32 v56, v56, 0, 8
	v_add_nc_u32_e32 v70, s3, v64
	v_bfe_i32 v57, v57, 0, 8
	v_bfe_i32 v58, v58, 0, 8
	v_bfe_i32 v59, v59, 0, 8
	v_max_i16 v56, v56, 0
	s_delay_alu instid0(VALU_DEP_4) | instskip(NEXT) | instid1(VALU_DEP_4)
	v_max_i16 v57, v57, 0
	v_max_i16 v58, v58, 0
	s_delay_alu instid0(VALU_DEP_4) | instskip(NEXT) | instid1(VALU_DEP_4)
	v_max_i16 v59, v59, 0
	v_and_b32_e32 v56, 0xffff, v56
	s_delay_alu instid0(VALU_DEP_4) | instskip(NEXT) | instid1(VALU_DEP_4)
	v_and_b32_e32 v57, 0xffff, v57
	v_and_b32_e32 v58, 0xffff, v58
	s_delay_alu instid0(VALU_DEP_4)
	v_and_b32_e32 v59, 0xffff, v59
	scratch_store_b128 off, v[56:59], off offset:240
	buffer_load_b32 v64, v70, s[24:27], 0 offen
	scratch_load_b128 v[56:59], off, off offset:256
	s_waitcnt vmcnt(1)
	v_cndmask_b32_e64 v71, 0, v64, s1
	scratch_load_b128 v[64:67], off, off offset:240
	s_mul_i32 s1, s34, 60
	s_delay_alu instid0(SALU_CYCLE_1)
	v_add3_u32 v70, s4, s1, v70
	v_lshrrev_b32_e32 v72, 8, v71
	v_lshrrev_b32_e32 v73, 16, v71
	v_lshrrev_b32_e32 v74, 24, v71
	s_waitcnt vmcnt(1)
	v_add_nc_u16 v56, v71, v56
	v_add_nc_u32_e32 v71, 64, v53
	v_add_nc_u16 v57, v72, v57
	v_add_nc_u16 v58, v73, v58
	;; [unrolled: 1-line block ×3, first 2 shown]
	v_bfe_i32 v56, v56, 0, 8
	v_cmp_gt_i32_e64 s1, s33, v71
	v_bfe_i32 v57, v57, 0, 8
	v_bfe_i32 v58, v58, 0, 8
	;; [unrolled: 1-line block ×3, first 2 shown]
	v_max_i16 v56, v56, 0
	s_and_b32 s2, s1, s0
	v_max_i16 v57, v57, 0
	v_max_i16 v58, v58, 0
	;; [unrolled: 1-line block ×3, first 2 shown]
	v_and_b32_e32 v56, 0xffff, v56
	s_and_b32 s1, s1, vcc_lo
	v_and_b32_e32 v57, 0xffff, v57
	v_and_b32_e32 v58, 0xffff, v58
	;; [unrolled: 1-line block ×3, first 2 shown]
	v_add_nc_u32_e32 v72, 0x42, v53
	v_add_nc_u32_e32 v73, 0x43, v53
	v_cmp_gt_i32_e64 s4, s36, v69
	v_cmp_gt_i32_e64 s11, s36, v71
	scratch_store_b128 off, v[56:59], off offset:256
	buffer_load_b32 v56, v70, s[24:27], 0 offen
	v_cmp_gt_i32_e64 s7, s36, v72
	v_cmp_ge_i32_e64 s8, s36, v72
	v_cmp_gt_i32_e64 s5, s36, v73
	v_cmp_ge_i32_e64 s6, s36, v73
	s_waitcnt vmcnt(0)
	v_cndmask_b32_e64 v56, 0, v56, s2
	s_delay_alu instid0(VALU_DEP_1)
	v_lshrrev_b32_e32 v57, 8, v56
	v_lshrrev_b32_e32 v58, 16, v56
	;; [unrolled: 1-line block ×3, first 2 shown]
	v_add_nc_u16 v32, v56, v32
	v_add_nc_u32_e32 v56, s3, v70
	v_add_nc_u16 v33, v57, v33
	v_add_nc_u16 v34, v58, v34
	;; [unrolled: 1-line block ×3, first 2 shown]
	v_bfe_i32 v32, v32, 0, 8
	s_delay_alu instid0(VALU_DEP_4) | instskip(NEXT) | instid1(VALU_DEP_4)
	v_bfe_i32 v33, v33, 0, 8
	v_bfe_i32 v34, v34, 0, 8
	s_delay_alu instid0(VALU_DEP_4) | instskip(NEXT) | instid1(VALU_DEP_4)
	v_bfe_i32 v35, v35, 0, 8
	v_max_i16 v32, v32, 0
	s_delay_alu instid0(VALU_DEP_4) | instskip(NEXT) | instid1(VALU_DEP_4)
	v_max_i16 v33, v33, 0
	v_max_i16 v34, v34, 0
	s_delay_alu instid0(VALU_DEP_4) | instskip(NEXT) | instid1(VALU_DEP_4)
	v_max_i16 v35, v35, 0
	v_and_b32_e32 v32, 0xffff, v32
	s_delay_alu instid0(VALU_DEP_4) | instskip(NEXT) | instid1(VALU_DEP_4)
	v_and_b32_e32 v33, 0xffff, v33
	v_and_b32_e32 v34, 0xffff, v34
	s_delay_alu instid0(VALU_DEP_4) | instskip(SKIP_4) | instid1(VALU_DEP_1)
	v_and_b32_e32 v35, 0xffff, v35
	scratch_store_b128 off, v[32:35], off offset:272
	buffer_load_b32 v32, v56, s[24:27], 0 offen
	s_waitcnt vmcnt(0)
	v_cndmask_b32_e64 v32, 0, v32, s1
	v_lshrrev_b32_e32 v33, 8, v32
	v_lshrrev_b32_e32 v34, 16, v32
	;; [unrolled: 1-line block ×3, first 2 shown]
	v_add_nc_u16 v28, v32, v28
	v_add_nc_u32_e32 v32, s34, v70
	v_add_nc_u16 v29, v33, v29
	v_add_nc_u16 v30, v34, v30
	;; [unrolled: 1-line block ×3, first 2 shown]
	v_bfe_i32 v28, v28, 0, 8
	v_add_nc_u32_e32 v70, 0x41, v53
	v_bfe_i32 v29, v29, 0, 8
	v_bfe_i32 v30, v30, 0, 8
	;; [unrolled: 1-line block ×3, first 2 shown]
	v_max_i16 v28, v28, 0
	v_cmp_gt_i32_e64 s1, s33, v70
	v_max_i16 v29, v29, 0
	v_max_i16 v30, v30, 0
	;; [unrolled: 1-line block ×3, first 2 shown]
	v_and_b32_e32 v28, 0xffff, v28
	s_and_b32 s2, s1, s0
	v_and_b32_e32 v29, 0xffff, v29
	v_and_b32_e32 v30, 0xffff, v30
	;; [unrolled: 1-line block ×3, first 2 shown]
	s_and_b32 s1, s1, vcc_lo
	v_cmp_gt_i32_e64 s9, s36, v70
	v_cmp_ge_i32_e64 s10, s36, v70
	scratch_store_b128 off, v[28:31], off offset:288
	buffer_load_b32 v28, v32, s[24:27], 0 offen
	s_waitcnt vmcnt(0)
	v_cndmask_b32_e64 v28, 0, v28, s2
	s_delay_alu instid0(VALU_DEP_1)
	v_lshrrev_b32_e32 v29, 8, v28
	v_lshrrev_b32_e32 v30, 16, v28
	;; [unrolled: 1-line block ×3, first 2 shown]
	v_add_nc_u16 v24, v28, v24
	v_add_nc_u32_e32 v28, s3, v32
	v_add_nc_u16 v25, v29, v25
	v_add_nc_u16 v26, v30, v26
	;; [unrolled: 1-line block ×3, first 2 shown]
	v_bfe_i32 v24, v24, 0, 8
	s_delay_alu instid0(VALU_DEP_4) | instskip(NEXT) | instid1(VALU_DEP_4)
	v_bfe_i32 v25, v25, 0, 8
	v_bfe_i32 v26, v26, 0, 8
	s_delay_alu instid0(VALU_DEP_4) | instskip(NEXT) | instid1(VALU_DEP_4)
	v_bfe_i32 v27, v27, 0, 8
	v_max_i16 v24, v24, 0
	s_delay_alu instid0(VALU_DEP_4) | instskip(NEXT) | instid1(VALU_DEP_4)
	v_max_i16 v25, v25, 0
	v_max_i16 v26, v26, 0
	s_delay_alu instid0(VALU_DEP_4) | instskip(NEXT) | instid1(VALU_DEP_4)
	v_max_i16 v27, v27, 0
	v_and_b32_e32 v24, 0xffff, v24
	s_delay_alu instid0(VALU_DEP_4) | instskip(NEXT) | instid1(VALU_DEP_4)
	v_and_b32_e32 v25, 0xffff, v25
	v_and_b32_e32 v26, 0xffff, v26
	s_delay_alu instid0(VALU_DEP_4)
	v_and_b32_e32 v27, 0xffff, v27
	scratch_store_b128 off, v[24:27], off offset:304
	buffer_load_b32 v24, v28, s[24:27], 0 offen
	s_waitcnt vmcnt(0)
	v_cndmask_b32_e64 v24, 0, v24, s1
	v_cmp_gt_i32_e64 s1, s33, v72
	s_delay_alu instid0(VALU_DEP_2)
	v_lshrrev_b32_e32 v25, 8, v24
	v_lshrrev_b32_e32 v26, 16, v24
	;; [unrolled: 1-line block ×3, first 2 shown]
	v_add_nc_u16 v20, v24, v20
	v_add_nc_u32_e32 v24, s34, v32
	v_add_nc_u16 v21, v25, v21
	v_add_nc_u16 v22, v26, v22
	;; [unrolled: 1-line block ×3, first 2 shown]
	v_bfe_i32 v20, v20, 0, 8
	s_and_b32 s2, s1, s0
	v_bfe_i32 v21, v21, 0, 8
	v_bfe_i32 v22, v22, 0, 8
	;; [unrolled: 1-line block ×3, first 2 shown]
	v_max_i16 v20, v20, 0
	s_and_b32 s1, s1, vcc_lo
	v_max_i16 v21, v21, 0
	v_max_i16 v22, v22, 0
	;; [unrolled: 1-line block ×3, first 2 shown]
	v_and_b32_e32 v20, 0xffff, v20
	s_delay_alu instid0(VALU_DEP_4) | instskip(NEXT) | instid1(VALU_DEP_4)
	v_and_b32_e32 v21, 0xffff, v21
	v_and_b32_e32 v22, 0xffff, v22
	s_delay_alu instid0(VALU_DEP_4)
	v_and_b32_e32 v23, 0xffff, v23
	scratch_store_b128 off, v[20:23], off offset:320
	buffer_load_b32 v20, v24, s[24:27], 0 offen
	s_waitcnt vmcnt(0)
	v_cndmask_b32_e64 v20, 0, v20, s2
	v_cmp_gt_i32_e64 s2, s36, v55
	s_delay_alu instid0(VALU_DEP_2)
	v_lshrrev_b32_e32 v21, 8, v20
	v_lshrrev_b32_e32 v22, 16, v20
	;; [unrolled: 1-line block ×3, first 2 shown]
	v_add_nc_u16 v16, v20, v16
	v_add_nc_u32_e32 v20, s3, v24
	v_add_nc_u16 v17, v21, v17
	v_add_nc_u16 v18, v22, v18
	;; [unrolled: 1-line block ×3, first 2 shown]
	v_bfe_i32 v16, v16, 0, 8
	s_delay_alu instid0(VALU_DEP_4) | instskip(NEXT) | instid1(VALU_DEP_4)
	v_bfe_i32 v17, v17, 0, 8
	v_bfe_i32 v18, v18, 0, 8
	s_delay_alu instid0(VALU_DEP_4) | instskip(NEXT) | instid1(VALU_DEP_4)
	v_bfe_i32 v19, v19, 0, 8
	v_max_i16 v16, v16, 0
	s_delay_alu instid0(VALU_DEP_4) | instskip(NEXT) | instid1(VALU_DEP_4)
	v_max_i16 v17, v17, 0
	v_max_i16 v18, v18, 0
	s_delay_alu instid0(VALU_DEP_4) | instskip(NEXT) | instid1(VALU_DEP_4)
	v_max_i16 v19, v19, 0
	v_and_b32_e32 v16, 0xffff, v16
	s_delay_alu instid0(VALU_DEP_4) | instskip(NEXT) | instid1(VALU_DEP_4)
	v_and_b32_e32 v17, 0xffff, v17
	v_and_b32_e32 v18, 0xffff, v18
	s_delay_alu instid0(VALU_DEP_4)
	v_and_b32_e32 v19, 0xffff, v19
	scratch_store_b128 off, v[16:19], off offset:336
	buffer_load_b32 v16, v20, s[24:27], 0 offen
	s_waitcnt vmcnt(0)
	v_cndmask_b32_e64 v16, 0, v16, s1
	v_cmp_gt_i32_e64 s1, s33, v73
	s_delay_alu instid0(VALU_DEP_2)
	v_lshrrev_b32_e32 v17, 8, v16
	v_lshrrev_b32_e32 v18, 16, v16
	;; [unrolled: 1-line block ×3, first 2 shown]
	v_add_nc_u16 v12, v16, v12
	v_add_nc_u32_e32 v16, s34, v24
	v_add_nc_u16 v13, v17, v13
	v_add_nc_u16 v14, v18, v14
	;; [unrolled: 1-line block ×3, first 2 shown]
	v_bfe_i32 v12, v12, 0, 8
	s_and_b32 s0, s1, s0
	v_bfe_i32 v13, v13, 0, 8
	v_bfe_i32 v14, v14, 0, 8
	;; [unrolled: 1-line block ×3, first 2 shown]
	v_max_i16 v12, v12, 0
	s_and_b32 vcc_lo, s1, vcc_lo
	v_max_i16 v13, v13, 0
	v_max_i16 v14, v14, 0
	;; [unrolled: 1-line block ×3, first 2 shown]
	v_and_b32_e32 v12, 0xffff, v12
	s_delay_alu instid0(VALU_DEP_4) | instskip(NEXT) | instid1(VALU_DEP_4)
	v_and_b32_e32 v13, 0xffff, v13
	v_and_b32_e32 v14, 0xffff, v14
	s_delay_alu instid0(VALU_DEP_4)
	v_and_b32_e32 v15, 0xffff, v15
	scratch_store_b128 off, v[12:15], off offset:352
	buffer_load_b32 v12, v16, s[24:27], 0 offen
	s_waitcnt vmcnt(0)
	v_cndmask_b32_e64 v12, 0, v12, s0
	v_cmp_gt_i32_e64 s0, s36, v53
	v_mul_lo_u32 v53, v53, s48
	s_delay_alu instid0(VALU_DEP_3)
	v_lshrrev_b32_e32 v13, 8, v12
	v_lshrrev_b32_e32 v14, 16, v12
	;; [unrolled: 1-line block ×3, first 2 shown]
	v_add_nc_u16 v8, v12, v8
	v_add_nc_u32_e32 v12, s3, v16
	v_add_nc_u16 v9, v13, v9
	v_add_nc_u16 v10, v14, v10
	;; [unrolled: 1-line block ×3, first 2 shown]
	v_bfe_i32 v8, v8, 0, 8
	v_cmp_gt_i32_e64 s3, s36, v68
	v_bfe_i32 v9, v9, 0, 8
	v_bfe_i32 v10, v10, 0, 8
	;; [unrolled: 1-line block ×3, first 2 shown]
	v_max_i16 v8, v8, 0
	v_mad_u64_u32 v[68:69], null, v52, s49, v[53:54]
	v_max_i16 v9, v9, 0
	v_max_i16 v10, v10, 0
	;; [unrolled: 1-line block ×3, first 2 shown]
	v_and_b32_e32 v8, 0xffff, v8
	v_lshlrev_b32_e32 v54, 16, v54
	v_and_b32_e32 v9, 0xffff, v9
	v_and_b32_e32 v10, 0xffff, v10
	;; [unrolled: 1-line block ×3, first 2 shown]
	v_add_nc_u32_e32 v88, s48, v68
	v_lshl_or_b32 v1, v1, 8, v54
	scratch_store_b128 off, v[8:11], off offset:368
	buffer_load_b32 v20, v12, s[24:27], 0 offen
	s_clause 0x2
	scratch_load_b128 v[8:11], off, off offset:256
	scratch_load_b128 v[12:15], off, off offset:272
	;; [unrolled: 1-line block ×3, first 2 shown]
	s_waitcnt vmcnt(2)
	v_dual_cndmask_b32 v24, 0, v20 :: v_dual_lshlrev_b32 v9, 8, v9
	scratch_load_b128 v[20:23], off, off offset:288
	v_cmp_gt_i32_e32 vcc_lo, s50, v52
	v_add_nc_u32_e32 v52, s12, v68
	v_lshlrev_b32_e32 v10, 16, v10
	v_lshrrev_b32_e32 v25, 8, v24
	v_lshrrev_b32_e32 v28, 16, v24
	;; [unrolled: 1-line block ×3, first 2 shown]
	v_add_nc_u16 v4, v24, v4
	v_add_nc_u32_e32 v69, s48, v52
	v_add_nc_u16 v5, v25, v5
	v_add_nc_u16 v6, v28, v6
	scratch_load_b128 v[28:31], off, off offset:320
	v_add_nc_u16 v7, v32, v7
	v_bfe_i32 v4, v4, 0, 8
	v_bfe_i32 v5, v5, 0, 8
	;; [unrolled: 1-line block ×3, first 2 shown]
	scratch_load_b128 v[24:27], off, off offset:336
	v_bfe_i32 v32, v7, 0, 8
	v_max_i16 v56, v4, 0
	v_max_i16 v57, v5, 0
	v_max_i16 v58, v6, 0
	scratch_load_b128 v[4:7], off, off offset:368
	v_max_i16 v59, v32, 0
	v_and_b32_e32 v56, 0xffff, v56
	v_and_b32_e32 v57, 0xffff, v57
	;; [unrolled: 1-line block ×3, first 2 shown]
	scratch_load_b128 v[32:35], off, off offset:352
	v_and_b32_e32 v59, 0xffff, v59
	s_and_b32 s1, s0, vcc_lo
	v_add_nc_u32_e32 v72, s48, v69
	v_cndmask_b32_e64 v74, 0x80000000, 0, s1
	v_cmp_gt_i32_e64 s1, s50, v2
	scratch_store_b128 off, v[56:59], off offset:384
	scratch_load_b128 v[56:59], off, off offset:384
	v_add_nc_u32_e32 v76, s48, v72
	v_lshlrev_b32_e32 v11, 24, v11
	s_and_b32 s0, s0, s1
	v_perm_b32 v8, v9, v8, 0xc0c0500
	v_cndmask_b32_e64 v2, 0x80000000, 0, s0
	s_and_b32 s0, s2, s1
	v_subrev_nc_u32_e32 v79, s12, v76
	v_and_b32_e32 v9, 0xff0000, v10
	s_waitcnt vmcnt(7)
	v_lshlrev_b32_e32 v13, 8, v13
	v_lshlrev_b32_e32 v14, 16, v14
	v_cndmask_b32_e64 v53, 0x80000000, 0, s0
	s_and_b32 s0, s2, vcc_lo
	v_lshl_add_u32 v82, s14, 6, v79
	v_cndmask_b32_e64 v55, 0x80000000, 0, s0
	s_and_b32 s0, s3, vcc_lo
	v_or3_b32 v8, v8, v9, v11
	v_cndmask_b32_e64 v70, 0x80000000, 0, s0
	s_and_b32 s0, s3, s1
	v_perm_b32 v11, v13, v12, 0xc0c0500
	v_and_b32_e32 v12, 0xff0000, v14
	s_waitcnt vmcnt(6)
	v_lshlrev_b32_e32 v13, 8, v17
	v_lshlrev_b32_e32 v14, 16, v18
	v_cndmask_b32_e64 v71, 0x80000000, 0, s0
	s_and_b32 s0, s4, s1
	v_lshlrev_b32_e32 v3, 24, v3
	v_cndmask_b32_e64 v73, 0x80000000, 0, s0
	s_and_b32 s0, s4, vcc_lo
	v_subrev_nc_u32_e32 v85, s48, v82
	v_lshlrev_b32_e32 v9, 24, v15
	v_lshlrev_b32_e32 v15, 24, v19
	v_perm_b32 v13, v13, v16, 0xc0c0500
	v_and_b32_e32 v14, 0xff0000, v14
	v_cndmask_b32_e64 v75, 0x80000000, 0, s0
	s_and_b32 s0, s5, vcc_lo
	v_or3_b32 v0, v3, v1, v0
	v_or3_b32 v1, v36, v37, v39
	v_lshlrev_b32_e32 v3, 24, v43
	v_perm_b32 v36, v41, v40, 0xc0c0500
	v_and_b32_e32 v37, 0xff0000, v42
	v_lshlrev_b32_e32 v39, 8, v45
	v_lshlrev_b32_e32 v40, 16, v46
	;; [unrolled: 1-line block ×4, first 2 shown]
	v_cndmask_b32_e64 v77, 0x80000000, 0, s0
	s_and_b32 s0, s5, s1
	v_subrev_nc_u32_e32 v89, s12, v85
	v_cndmask_b32_e64 v78, 0x80000000, 0, s0
	s_and_b32 s0, s6, s1
	v_or3_b32 v13, v13, v14, v15
	v_cndmask_b32_e64 v80, 0x80000000, 0, s0
	s_and_b32 s0, s7, vcc_lo
	v_lshlrev_b32_e32 v41, 24, v47
	v_perm_b32 v39, v39, v44, 0xc0c0500
	v_and_b32_e32 v40, 0xff0000, v40
	v_lshlrev_b32_e32 v44, 24, v51
	v_perm_b32 v42, v42, v48, 0xc0c0500
	v_and_b32_e32 v43, 0xff0000, v43
	v_cndmask_b32_e64 v81, 0x80000000, 0, s0
	s_and_b32 s0, s8, vcc_lo
	v_add_nc_u32_e32 v2, v2, v52
	v_add_nc_u32_e32 v52, v88, v55
	v_subrev_nc_u32_e32 v55, s48, v89
	v_or3_b32 v3, v36, v37, v3
	v_lshlrev_b32_e32 v36, 8, v61
	v_lshlrev_b32_e32 v37, 16, v62
	v_or3_b32 v9, v11, v12, v9
	v_cndmask_b32_e64 v83, 0x80000000, 0, s0
	s_and_b32 s0, s9, s1
	v_or3_b32 v39, v39, v40, v41
	v_or3_b32 v40, v42, v43, v44
	v_lshlrev_b32_e32 v42, 8, v65
	v_lshlrev_b32_e32 v43, 16, v66
	v_cndmask_b32_e64 v84, 0x80000000, 0, s0
	s_and_b32 s0, s11, vcc_lo
	v_add_nc_u32_e32 v68, v74, v68
	v_cndmask_b32_e64 v86, 0x80000000, 0, s0
	v_add_nc_u32_e32 v53, v53, v69
	v_add_nc_u32_e32 v69, v72, v71
	;; [unrolled: 1-line block ×3, first 2 shown]
	v_lshlrev_b32_e32 v41, 24, v63
	v_perm_b32 v36, v36, v60, 0xc0c0500
	v_and_b32_e32 v37, 0xff0000, v37
	v_lshlrev_b32_e32 v44, 24, v67
	v_perm_b32 v42, v42, v64, 0xc0c0500
	v_and_b32_e32 v43, 0xff0000, v43
	s_and_b32 s0, s10, s1
	buffer_store_b32 v0, v68, s[16:19], 0 offen
	v_cndmask_b32_e64 v87, 0x80000000, 0, s0
	v_subrev_nc_u32_e32 v86, s12, v86
	v_add3_u32 v74, v77, s13, v79
	v_subrev_nc_u32_e32 v77, s48, v72
	v_or3_b32 v10, v36, v37, v41
	v_add_nc_u32_e32 v71, v76, v73
	v_add_nc_u32_e32 v73, v79, v75
	v_or3_b32 v36, v42, v43, v44
	v_add3_u32 v70, v70, s48, v88
	v_add_nc_u32_e32 v75, v82, v78
	v_add_nc_u32_e32 v76, v85, v80
	;; [unrolled: 1-line block ×7, first 2 shown]
	s_clause 0x3
	buffer_store_b32 v1, v2, s[16:19], 0 offen
	buffer_store_b32 v39, v53, s[16:19], 0 offen
	;; [unrolled: 1-line block ×4, first 2 shown]
	s_waitcnt vmcnt(5)
	v_lshlrev_b32_e32 v17, 8, v21
	v_lshlrev_b32_e32 v18, 16, v22
	;; [unrolled: 1-line block ×3, first 2 shown]
	s_delay_alu instid0(VALU_DEP_3) | instskip(NEXT) | instid1(VALU_DEP_3)
	v_perm_b32 v12, v17, v20, 0xc0c0500
	v_and_b32_e32 v16, 0xff0000, v18
	s_waitcnt vmcnt(4)
	v_lshlrev_b32_e32 v18, 8, v29
	v_lshlrev_b32_e32 v19, 16, v30
	s_delay_alu instid0(VALU_DEP_3)
	v_or3_b32 v11, v12, v16, v11
	v_lshlrev_b32_e32 v12, 24, v31
	s_waitcnt vmcnt(3)
	v_lshlrev_b32_e32 v14, 8, v25
	v_lshlrev_b32_e32 v15, 16, v26
	;; [unrolled: 1-line block ×3, first 2 shown]
	v_perm_b32 v16, v18, v28, 0xc0c0500
	v_and_b32_e32 v18, 0xff0000, v19
	s_waitcnt vmcnt(2)
	v_lshlrev_b32_e32 v5, 8, v5
	v_lshlrev_b32_e32 v6, 16, v6
	;; [unrolled: 1-line block ×3, first 2 shown]
	v_perm_b32 v14, v14, v24, 0xc0c0500
	v_and_b32_e32 v15, 0xff0000, v15
	v_perm_b32 v4, v5, v4, 0xc0c0500
	v_and_b32_e32 v5, 0xff0000, v6
	s_waitcnt vmcnt(1)
	v_lshlrev_b32_e32 v6, 24, v35
	v_or3_b32 v12, v16, v18, v12
	v_or3_b32 v14, v14, v15, v17
	v_lshlrev_b32_e32 v15, 8, v33
	v_or3_b32 v4, v4, v5, v7
	s_waitcnt vmcnt(0)
	v_lshlrev_b32_e32 v5, 8, v57
	v_lshlrev_b32_e32 v7, 16, v58
	;; [unrolled: 1-line block ×4, first 2 shown]
	v_perm_b32 v15, v15, v32, 0xc0c0500
	v_perm_b32 v5, v5, v56, 0xc0c0500
	v_and_b32_e32 v7, 0xff0000, v7
	v_and_b32_e32 v17, 0xff0000, v17
	s_delay_alu instid0(VALU_DEP_2) | instskip(NEXT) | instid1(VALU_DEP_2)
	v_or3_b32 v0, v5, v7, v0
	v_or3_b32 v6, v15, v17, v6
	s_clause 0xa
	buffer_store_b32 v10, v69, s[16:19], 0 offen
	buffer_store_b32 v8, v71, s[16:19], 0 offen
	;; [unrolled: 1-line block ×11, first 2 shown]
	s_endpgm
	.section	.rodata,"a",@progbits
	.p2align	6, 0x0
	.amdhsa_kernel _ZN2ck16tensor_operation6device12_GLOBAL__N_137kernel_grouped_conv_fwd_dl_multiple_dINS_32GridwiseGemmDlMultipleD_km_kn_mnILi256EaiNS_5TupleIJaEEEaNS0_12element_wise11PassThroughES8_NS7_7AddReluELNS_25InMemoryDataOperationEnumE0ENS_16TensorDescriptorINS5_IJNS_5EmbedINS5_IJiiiiEEESD_Lb0EEENS_11PassThroughIiEENS_3PadIiiiLb0EEESI_SG_SG_NSC_INS5_IJiiEEESJ_Lb0EEESK_SG_NS_23Merge_v2_magic_divisionINS5_IJiiiEEEEESN_NS_8RightPadIiiLb0EEESP_NS_7UnMergeISJ_Lb0EEESG_EEENS5_IJNS_8SequenceIJLi0EEEENST_IJLi1EEEENST_IJLi2EEEENST_IJLi3EEEENST_IJLi4EEEENST_IJLi5EEEENST_IJLi6EEEENST_IJLi7EEEENST_IJLi8EEEENST_IJLi9ELi11ELi13EEEENST_IJLi10ELi12ELi14EEEENST_IJLi15EEEENST_IJLi16EEEENST_IJLi18EEEENST_IJLi17EEEEEEENS5_IJNST_IJLi1ELi2ELi3ELi4EEEESZ_S10_S11_S12_NST_IJLi9EEEENST_IJLi10ELi11EEEENST_IJLi12ELi13EEEENST_IJLi14EEEES15_S16_S18_S17_NST_IJLi19ELi20EEEENST_IJLi21EEEEEEENST_IJLi19ELi21ELi20EEEElEENSB_INS5_IJSR_SP_SP_SR_SG_EEENS5_IJSU_SV_SW_SY_SX_EEENS5_IJNST_IJLi1ELi2EEEESX_SY_NST_IJLi5ELi6EEEES11_EEENST_IJLi5ELi7ELi6EEEElEENSB_INS5_IJSK_SP_SP_EEENS5_IJSU_SV_SW_EEENS5_IJS1M_SX_SY_EEENST_IJLi3ELi4EEEElEELi128ELi128ELi16ELi4ELi4ELi4ELi1ENST_IJLi8ELi2EEEES1W_NST_IJLi8ELi1ELi1ELi4EEEENST_IJLi2ELi1ELi128ELi1EEEENST_IJLi1ELi2ELi0ELi3EEEES1Z_NST_IJLi4ELi1ELi1ELi4EEEES1Z_NST_IJLi1ELi1ELi1ELi4EEEES1X_S1Y_S1Z_S1Z_S20_S1Z_S21_NST_IJLi0ELi1ELi2ELi3ELi4ELi5EEEELi5ELi4EEEaNS5_IJPKaEEEaS8_S8_S9_NSB_INS5_IJSE_SG_SI_SI_SG_SG_SK_SK_SG_SN_SN_SP_SP_SR_SG_SG_NSQ_INS5_IJiNS_17integral_constantIiLi128EEEEEELb0EEENSF_INS27_IiLi4EEEEEEEENS5_IJSU_SV_SW_SX_SY_SZ_S10_S11_S12_S13_S14_S15_S16_S17_S18_NST_IJLi19EEEES1G_NST_IJLi20EEEEEEENS5_IJS1A_SZ_S10_S11_S12_S1B_S1C_S1D_S1E_S15_S16_S18_S17_S1F_S1G_NST_IJLi22EEEENST_IJLi23ELi24EEEENST_IJLi25EEEEEEENST_IJLi22ELi23ELi24ELi25EEEElEENSB_INS5_IJSR_SP_SP_SR_SG_SG_S2A_S2C_EEENS5_IJSU_SV_SW_SY_SX_SZ_S11_S10_EEENS5_IJS1M_SX_SY_S1N_S11_S12_NST_IJLi9ELi10EEEENST_IJLi11EEEEEEENST_IJLi8ELi9ELi10ELi11EEEElEENS5_IJNSB_INS5_IJSK_SP_SP_NSQ_INS5_IJiNS27_IiLi2EEENS27_IiLi64EEEEEELb0EEES2X_EEENS5_IJSU_SV_SW_SX_SY_EEENS5_IJS1M_SX_SY_NST_IJLi5ELi6ELi7EEEENST_IJLi8ELi9ELi10EEEEEEENST_IJLi5ELi6ELi7ELi8ELi9ELi10EEEElEEEEES34_NS_31BlockToCTileMap_M00_N00_M01_N01ILi128ELi128ES1V_Lb0EEENS1_30ComputePtrOffsetOfStridedBatchILi1ELi1ELi1EvEELb1ELb0EEEvPKT0_S3C_T1_PT2_T3_T4_T5_iT6_T7_T8_T9_T10_T11_
		.amdhsa_group_segment_fixed_size 32768
		.amdhsa_private_segment_fixed_size 480
		.amdhsa_kernarg_size 968
		.amdhsa_user_sgpr_count 15
		.amdhsa_user_sgpr_dispatch_ptr 0
		.amdhsa_user_sgpr_queue_ptr 0
		.amdhsa_user_sgpr_kernarg_segment_ptr 1
		.amdhsa_user_sgpr_dispatch_id 0
		.amdhsa_user_sgpr_private_segment_size 0
		.amdhsa_wavefront_size32 1
		.amdhsa_uses_dynamic_stack 0
		.amdhsa_enable_private_segment 1
		.amdhsa_system_sgpr_workgroup_id_x 1
		.amdhsa_system_sgpr_workgroup_id_y 0
		.amdhsa_system_sgpr_workgroup_id_z 0
		.amdhsa_system_sgpr_workgroup_info 0
		.amdhsa_system_vgpr_workitem_id 0
		.amdhsa_next_free_vgpr 111
		.amdhsa_next_free_sgpr 89
		.amdhsa_reserve_vcc 1
		.amdhsa_float_round_mode_32 0
		.amdhsa_float_round_mode_16_64 0
		.amdhsa_float_denorm_mode_32 3
		.amdhsa_float_denorm_mode_16_64 3
		.amdhsa_dx10_clamp 1
		.amdhsa_ieee_mode 1
		.amdhsa_fp16_overflow 0
		.amdhsa_workgroup_processor_mode 1
		.amdhsa_memory_ordered 1
		.amdhsa_forward_progress 0
		.amdhsa_shared_vgpr_count 0
		.amdhsa_exception_fp_ieee_invalid_op 0
		.amdhsa_exception_fp_denorm_src 0
		.amdhsa_exception_fp_ieee_div_zero 0
		.amdhsa_exception_fp_ieee_overflow 0
		.amdhsa_exception_fp_ieee_underflow 0
		.amdhsa_exception_fp_ieee_inexact 0
		.amdhsa_exception_int_div_zero 0
	.end_amdhsa_kernel
	.section	.text._ZN2ck16tensor_operation6device12_GLOBAL__N_137kernel_grouped_conv_fwd_dl_multiple_dINS_32GridwiseGemmDlMultipleD_km_kn_mnILi256EaiNS_5TupleIJaEEEaNS0_12element_wise11PassThroughES8_NS7_7AddReluELNS_25InMemoryDataOperationEnumE0ENS_16TensorDescriptorINS5_IJNS_5EmbedINS5_IJiiiiEEESD_Lb0EEENS_11PassThroughIiEENS_3PadIiiiLb0EEESI_SG_SG_NSC_INS5_IJiiEEESJ_Lb0EEESK_SG_NS_23Merge_v2_magic_divisionINS5_IJiiiEEEEESN_NS_8RightPadIiiLb0EEESP_NS_7UnMergeISJ_Lb0EEESG_EEENS5_IJNS_8SequenceIJLi0EEEENST_IJLi1EEEENST_IJLi2EEEENST_IJLi3EEEENST_IJLi4EEEENST_IJLi5EEEENST_IJLi6EEEENST_IJLi7EEEENST_IJLi8EEEENST_IJLi9ELi11ELi13EEEENST_IJLi10ELi12ELi14EEEENST_IJLi15EEEENST_IJLi16EEEENST_IJLi18EEEENST_IJLi17EEEEEEENS5_IJNST_IJLi1ELi2ELi3ELi4EEEESZ_S10_S11_S12_NST_IJLi9EEEENST_IJLi10ELi11EEEENST_IJLi12ELi13EEEENST_IJLi14EEEES15_S16_S18_S17_NST_IJLi19ELi20EEEENST_IJLi21EEEEEEENST_IJLi19ELi21ELi20EEEElEENSB_INS5_IJSR_SP_SP_SR_SG_EEENS5_IJSU_SV_SW_SY_SX_EEENS5_IJNST_IJLi1ELi2EEEESX_SY_NST_IJLi5ELi6EEEES11_EEENST_IJLi5ELi7ELi6EEEElEENSB_INS5_IJSK_SP_SP_EEENS5_IJSU_SV_SW_EEENS5_IJS1M_SX_SY_EEENST_IJLi3ELi4EEEElEELi128ELi128ELi16ELi4ELi4ELi4ELi1ENST_IJLi8ELi2EEEES1W_NST_IJLi8ELi1ELi1ELi4EEEENST_IJLi2ELi1ELi128ELi1EEEENST_IJLi1ELi2ELi0ELi3EEEES1Z_NST_IJLi4ELi1ELi1ELi4EEEES1Z_NST_IJLi1ELi1ELi1ELi4EEEES1X_S1Y_S1Z_S1Z_S20_S1Z_S21_NST_IJLi0ELi1ELi2ELi3ELi4ELi5EEEELi5ELi4EEEaNS5_IJPKaEEEaS8_S8_S9_NSB_INS5_IJSE_SG_SI_SI_SG_SG_SK_SK_SG_SN_SN_SP_SP_SR_SG_SG_NSQ_INS5_IJiNS_17integral_constantIiLi128EEEEEELb0EEENSF_INS27_IiLi4EEEEEEEENS5_IJSU_SV_SW_SX_SY_SZ_S10_S11_S12_S13_S14_S15_S16_S17_S18_NST_IJLi19EEEES1G_NST_IJLi20EEEEEEENS5_IJS1A_SZ_S10_S11_S12_S1B_S1C_S1D_S1E_S15_S16_S18_S17_S1F_S1G_NST_IJLi22EEEENST_IJLi23ELi24EEEENST_IJLi25EEEEEEENST_IJLi22ELi23ELi24ELi25EEEElEENSB_INS5_IJSR_SP_SP_SR_SG_SG_S2A_S2C_EEENS5_IJSU_SV_SW_SY_SX_SZ_S11_S10_EEENS5_IJS1M_SX_SY_S1N_S11_S12_NST_IJLi9ELi10EEEENST_IJLi11EEEEEEENST_IJLi8ELi9ELi10ELi11EEEElEENS5_IJNSB_INS5_IJSK_SP_SP_NSQ_INS5_IJiNS27_IiLi2EEENS27_IiLi64EEEEEELb0EEES2X_EEENS5_IJSU_SV_SW_SX_SY_EEENS5_IJS1M_SX_SY_NST_IJLi5ELi6ELi7EEEENST_IJLi8ELi9ELi10EEEEEEENST_IJLi5ELi6ELi7ELi8ELi9ELi10EEEElEEEEES34_NS_31BlockToCTileMap_M00_N00_M01_N01ILi128ELi128ES1V_Lb0EEENS1_30ComputePtrOffsetOfStridedBatchILi1ELi1ELi1EvEELb1ELb0EEEvPKT0_S3C_T1_PT2_T3_T4_T5_iT6_T7_T8_T9_T10_T11_,"axG",@progbits,_ZN2ck16tensor_operation6device12_GLOBAL__N_137kernel_grouped_conv_fwd_dl_multiple_dINS_32GridwiseGemmDlMultipleD_km_kn_mnILi256EaiNS_5TupleIJaEEEaNS0_12element_wise11PassThroughES8_NS7_7AddReluELNS_25InMemoryDataOperationEnumE0ENS_16TensorDescriptorINS5_IJNS_5EmbedINS5_IJiiiiEEESD_Lb0EEENS_11PassThroughIiEENS_3PadIiiiLb0EEESI_SG_SG_NSC_INS5_IJiiEEESJ_Lb0EEESK_SG_NS_23Merge_v2_magic_divisionINS5_IJiiiEEEEESN_NS_8RightPadIiiLb0EEESP_NS_7UnMergeISJ_Lb0EEESG_EEENS5_IJNS_8SequenceIJLi0EEEENST_IJLi1EEEENST_IJLi2EEEENST_IJLi3EEEENST_IJLi4EEEENST_IJLi5EEEENST_IJLi6EEEENST_IJLi7EEEENST_IJLi8EEEENST_IJLi9ELi11ELi13EEEENST_IJLi10ELi12ELi14EEEENST_IJLi15EEEENST_IJLi16EEEENST_IJLi18EEEENST_IJLi17EEEEEEENS5_IJNST_IJLi1ELi2ELi3ELi4EEEESZ_S10_S11_S12_NST_IJLi9EEEENST_IJLi10ELi11EEEENST_IJLi12ELi13EEEENST_IJLi14EEEES15_S16_S18_S17_NST_IJLi19ELi20EEEENST_IJLi21EEEEEEENST_IJLi19ELi21ELi20EEEElEENSB_INS5_IJSR_SP_SP_SR_SG_EEENS5_IJSU_SV_SW_SY_SX_EEENS5_IJNST_IJLi1ELi2EEEESX_SY_NST_IJLi5ELi6EEEES11_EEENST_IJLi5ELi7ELi6EEEElEENSB_INS5_IJSK_SP_SP_EEENS5_IJSU_SV_SW_EEENS5_IJS1M_SX_SY_EEENST_IJLi3ELi4EEEElEELi128ELi128ELi16ELi4ELi4ELi4ELi1ENST_IJLi8ELi2EEEES1W_NST_IJLi8ELi1ELi1ELi4EEEENST_IJLi2ELi1ELi128ELi1EEEENST_IJLi1ELi2ELi0ELi3EEEES1Z_NST_IJLi4ELi1ELi1ELi4EEEES1Z_NST_IJLi1ELi1ELi1ELi4EEEES1X_S1Y_S1Z_S1Z_S20_S1Z_S21_NST_IJLi0ELi1ELi2ELi3ELi4ELi5EEEELi5ELi4EEEaNS5_IJPKaEEEaS8_S8_S9_NSB_INS5_IJSE_SG_SI_SI_SG_SG_SK_SK_SG_SN_SN_SP_SP_SR_SG_SG_NSQ_INS5_IJiNS_17integral_constantIiLi128EEEEEELb0EEENSF_INS27_IiLi4EEEEEEEENS5_IJSU_SV_SW_SX_SY_SZ_S10_S11_S12_S13_S14_S15_S16_S17_S18_NST_IJLi19EEEES1G_NST_IJLi20EEEEEEENS5_IJS1A_SZ_S10_S11_S12_S1B_S1C_S1D_S1E_S15_S16_S18_S17_S1F_S1G_NST_IJLi22EEEENST_IJLi23ELi24EEEENST_IJLi25EEEEEEENST_IJLi22ELi23ELi24ELi25EEEElEENSB_INS5_IJSR_SP_SP_SR_SG_SG_S2A_S2C_EEENS5_IJSU_SV_SW_SY_SX_SZ_S11_S10_EEENS5_IJS1M_SX_SY_S1N_S11_S12_NST_IJLi9ELi10EEEENST_IJLi11EEEEEEENST_IJLi8ELi9ELi10ELi11EEEElEENS5_IJNSB_INS5_IJSK_SP_SP_NSQ_INS5_IJiNS27_IiLi2EEENS27_IiLi64EEEEEELb0EEES2X_EEENS5_IJSU_SV_SW_SX_SY_EEENS5_IJS1M_SX_SY_NST_IJLi5ELi6ELi7EEEENST_IJLi8ELi9ELi10EEEEEEENST_IJLi5ELi6ELi7ELi8ELi9ELi10EEEElEEEEES34_NS_31BlockToCTileMap_M00_N00_M01_N01ILi128ELi128ES1V_Lb0EEENS1_30ComputePtrOffsetOfStridedBatchILi1ELi1ELi1EvEELb1ELb0EEEvPKT0_S3C_T1_PT2_T3_T4_T5_iT6_T7_T8_T9_T10_T11_,comdat
.Lfunc_end7:
	.size	_ZN2ck16tensor_operation6device12_GLOBAL__N_137kernel_grouped_conv_fwd_dl_multiple_dINS_32GridwiseGemmDlMultipleD_km_kn_mnILi256EaiNS_5TupleIJaEEEaNS0_12element_wise11PassThroughES8_NS7_7AddReluELNS_25InMemoryDataOperationEnumE0ENS_16TensorDescriptorINS5_IJNS_5EmbedINS5_IJiiiiEEESD_Lb0EEENS_11PassThroughIiEENS_3PadIiiiLb0EEESI_SG_SG_NSC_INS5_IJiiEEESJ_Lb0EEESK_SG_NS_23Merge_v2_magic_divisionINS5_IJiiiEEEEESN_NS_8RightPadIiiLb0EEESP_NS_7UnMergeISJ_Lb0EEESG_EEENS5_IJNS_8SequenceIJLi0EEEENST_IJLi1EEEENST_IJLi2EEEENST_IJLi3EEEENST_IJLi4EEEENST_IJLi5EEEENST_IJLi6EEEENST_IJLi7EEEENST_IJLi8EEEENST_IJLi9ELi11ELi13EEEENST_IJLi10ELi12ELi14EEEENST_IJLi15EEEENST_IJLi16EEEENST_IJLi18EEEENST_IJLi17EEEEEEENS5_IJNST_IJLi1ELi2ELi3ELi4EEEESZ_S10_S11_S12_NST_IJLi9EEEENST_IJLi10ELi11EEEENST_IJLi12ELi13EEEENST_IJLi14EEEES15_S16_S18_S17_NST_IJLi19ELi20EEEENST_IJLi21EEEEEEENST_IJLi19ELi21ELi20EEEElEENSB_INS5_IJSR_SP_SP_SR_SG_EEENS5_IJSU_SV_SW_SY_SX_EEENS5_IJNST_IJLi1ELi2EEEESX_SY_NST_IJLi5ELi6EEEES11_EEENST_IJLi5ELi7ELi6EEEElEENSB_INS5_IJSK_SP_SP_EEENS5_IJSU_SV_SW_EEENS5_IJS1M_SX_SY_EEENST_IJLi3ELi4EEEElEELi128ELi128ELi16ELi4ELi4ELi4ELi1ENST_IJLi8ELi2EEEES1W_NST_IJLi8ELi1ELi1ELi4EEEENST_IJLi2ELi1ELi128ELi1EEEENST_IJLi1ELi2ELi0ELi3EEEES1Z_NST_IJLi4ELi1ELi1ELi4EEEES1Z_NST_IJLi1ELi1ELi1ELi4EEEES1X_S1Y_S1Z_S1Z_S20_S1Z_S21_NST_IJLi0ELi1ELi2ELi3ELi4ELi5EEEELi5ELi4EEEaNS5_IJPKaEEEaS8_S8_S9_NSB_INS5_IJSE_SG_SI_SI_SG_SG_SK_SK_SG_SN_SN_SP_SP_SR_SG_SG_NSQ_INS5_IJiNS_17integral_constantIiLi128EEEEEELb0EEENSF_INS27_IiLi4EEEEEEEENS5_IJSU_SV_SW_SX_SY_SZ_S10_S11_S12_S13_S14_S15_S16_S17_S18_NST_IJLi19EEEES1G_NST_IJLi20EEEEEEENS5_IJS1A_SZ_S10_S11_S12_S1B_S1C_S1D_S1E_S15_S16_S18_S17_S1F_S1G_NST_IJLi22EEEENST_IJLi23ELi24EEEENST_IJLi25EEEEEEENST_IJLi22ELi23ELi24ELi25EEEElEENSB_INS5_IJSR_SP_SP_SR_SG_SG_S2A_S2C_EEENS5_IJSU_SV_SW_SY_SX_SZ_S11_S10_EEENS5_IJS1M_SX_SY_S1N_S11_S12_NST_IJLi9ELi10EEEENST_IJLi11EEEEEEENST_IJLi8ELi9ELi10ELi11EEEElEENS5_IJNSB_INS5_IJSK_SP_SP_NSQ_INS5_IJiNS27_IiLi2EEENS27_IiLi64EEEEEELb0EEES2X_EEENS5_IJSU_SV_SW_SX_SY_EEENS5_IJS1M_SX_SY_NST_IJLi5ELi6ELi7EEEENST_IJLi8ELi9ELi10EEEEEEENST_IJLi5ELi6ELi7ELi8ELi9ELi10EEEElEEEEES34_NS_31BlockToCTileMap_M00_N00_M01_N01ILi128ELi128ES1V_Lb0EEENS1_30ComputePtrOffsetOfStridedBatchILi1ELi1ELi1EvEELb1ELb0EEEvPKT0_S3C_T1_PT2_T3_T4_T5_iT6_T7_T8_T9_T10_T11_, .Lfunc_end7-_ZN2ck16tensor_operation6device12_GLOBAL__N_137kernel_grouped_conv_fwd_dl_multiple_dINS_32GridwiseGemmDlMultipleD_km_kn_mnILi256EaiNS_5TupleIJaEEEaNS0_12element_wise11PassThroughES8_NS7_7AddReluELNS_25InMemoryDataOperationEnumE0ENS_16TensorDescriptorINS5_IJNS_5EmbedINS5_IJiiiiEEESD_Lb0EEENS_11PassThroughIiEENS_3PadIiiiLb0EEESI_SG_SG_NSC_INS5_IJiiEEESJ_Lb0EEESK_SG_NS_23Merge_v2_magic_divisionINS5_IJiiiEEEEESN_NS_8RightPadIiiLb0EEESP_NS_7UnMergeISJ_Lb0EEESG_EEENS5_IJNS_8SequenceIJLi0EEEENST_IJLi1EEEENST_IJLi2EEEENST_IJLi3EEEENST_IJLi4EEEENST_IJLi5EEEENST_IJLi6EEEENST_IJLi7EEEENST_IJLi8EEEENST_IJLi9ELi11ELi13EEEENST_IJLi10ELi12ELi14EEEENST_IJLi15EEEENST_IJLi16EEEENST_IJLi18EEEENST_IJLi17EEEEEEENS5_IJNST_IJLi1ELi2ELi3ELi4EEEESZ_S10_S11_S12_NST_IJLi9EEEENST_IJLi10ELi11EEEENST_IJLi12ELi13EEEENST_IJLi14EEEES15_S16_S18_S17_NST_IJLi19ELi20EEEENST_IJLi21EEEEEEENST_IJLi19ELi21ELi20EEEElEENSB_INS5_IJSR_SP_SP_SR_SG_EEENS5_IJSU_SV_SW_SY_SX_EEENS5_IJNST_IJLi1ELi2EEEESX_SY_NST_IJLi5ELi6EEEES11_EEENST_IJLi5ELi7ELi6EEEElEENSB_INS5_IJSK_SP_SP_EEENS5_IJSU_SV_SW_EEENS5_IJS1M_SX_SY_EEENST_IJLi3ELi4EEEElEELi128ELi128ELi16ELi4ELi4ELi4ELi1ENST_IJLi8ELi2EEEES1W_NST_IJLi8ELi1ELi1ELi4EEEENST_IJLi2ELi1ELi128ELi1EEEENST_IJLi1ELi2ELi0ELi3EEEES1Z_NST_IJLi4ELi1ELi1ELi4EEEES1Z_NST_IJLi1ELi1ELi1ELi4EEEES1X_S1Y_S1Z_S1Z_S20_S1Z_S21_NST_IJLi0ELi1ELi2ELi3ELi4ELi5EEEELi5ELi4EEEaNS5_IJPKaEEEaS8_S8_S9_NSB_INS5_IJSE_SG_SI_SI_SG_SG_SK_SK_SG_SN_SN_SP_SP_SR_SG_SG_NSQ_INS5_IJiNS_17integral_constantIiLi128EEEEEELb0EEENSF_INS27_IiLi4EEEEEEEENS5_IJSU_SV_SW_SX_SY_SZ_S10_S11_S12_S13_S14_S15_S16_S17_S18_NST_IJLi19EEEES1G_NST_IJLi20EEEEEEENS5_IJS1A_SZ_S10_S11_S12_S1B_S1C_S1D_S1E_S15_S16_S18_S17_S1F_S1G_NST_IJLi22EEEENST_IJLi23ELi24EEEENST_IJLi25EEEEEEENST_IJLi22ELi23ELi24ELi25EEEElEENSB_INS5_IJSR_SP_SP_SR_SG_SG_S2A_S2C_EEENS5_IJSU_SV_SW_SY_SX_SZ_S11_S10_EEENS5_IJS1M_SX_SY_S1N_S11_S12_NST_IJLi9ELi10EEEENST_IJLi11EEEEEEENST_IJLi8ELi9ELi10ELi11EEEElEENS5_IJNSB_INS5_IJSK_SP_SP_NSQ_INS5_IJiNS27_IiLi2EEENS27_IiLi64EEEEEELb0EEES2X_EEENS5_IJSU_SV_SW_SX_SY_EEENS5_IJS1M_SX_SY_NST_IJLi5ELi6ELi7EEEENST_IJLi8ELi9ELi10EEEEEEENST_IJLi5ELi6ELi7ELi8ELi9ELi10EEEElEEEEES34_NS_31BlockToCTileMap_M00_N00_M01_N01ILi128ELi128ES1V_Lb0EEENS1_30ComputePtrOffsetOfStridedBatchILi1ELi1ELi1EvEELb1ELb0EEEvPKT0_S3C_T1_PT2_T3_T4_T5_iT6_T7_T8_T9_T10_T11_
                                        ; -- End function
	.section	.AMDGPU.csdata,"",@progbits
; Kernel info:
; codeLenInByte = 12392
; NumSgprs: 91
; NumVgprs: 111
; ScratchSize: 480
; MemoryBound: 0
; FloatMode: 240
; IeeeMode: 1
; LDSByteSize: 32768 bytes/workgroup (compile time only)
; SGPRBlocks: 11
; VGPRBlocks: 13
; NumSGPRsForWavesPerEU: 91
; NumVGPRsForWavesPerEU: 111
; Occupancy: 8
; WaveLimiterHint : 1
; COMPUTE_PGM_RSRC2:SCRATCH_EN: 1
; COMPUTE_PGM_RSRC2:USER_SGPR: 15
; COMPUTE_PGM_RSRC2:TRAP_HANDLER: 0
; COMPUTE_PGM_RSRC2:TGID_X_EN: 1
; COMPUTE_PGM_RSRC2:TGID_Y_EN: 0
; COMPUTE_PGM_RSRC2:TGID_Z_EN: 0
; COMPUTE_PGM_RSRC2:TIDIG_COMP_CNT: 0
	.section	.text._ZN2ck16tensor_operation6device12_GLOBAL__N_137kernel_grouped_conv_fwd_dl_multiple_dINS_32GridwiseGemmDlMultipleD_km_kn_mnILi256EaiNS_5TupleIJaEEEaNS0_12element_wise11PassThroughES8_NS7_7AddReluELNS_25InMemoryDataOperationEnumE0ENS_16TensorDescriptorINS5_IJNS_5EmbedINS5_IJiiiiEEESD_Lb0EEENS_11PassThroughIiEENS_3PadIiiiLb0EEESI_SG_SG_NSC_INS5_IJiiEEESJ_Lb0EEESK_SG_NS_23Merge_v2_magic_divisionINS5_IJiiiEEEEESN_NS_8RightPadIiiLb0EEESP_NS_7UnMergeISJ_Lb0EEESG_EEENS5_IJNS_8SequenceIJLi0EEEENST_IJLi1EEEENST_IJLi2EEEENST_IJLi3EEEENST_IJLi4EEEENST_IJLi5EEEENST_IJLi6EEEENST_IJLi7EEEENST_IJLi8EEEENST_IJLi9ELi11ELi13EEEENST_IJLi10ELi12ELi14EEEENST_IJLi15EEEENST_IJLi16EEEENST_IJLi18EEEENST_IJLi17EEEEEEENS5_IJNST_IJLi1ELi2ELi3ELi4EEEESZ_S10_S11_S12_NST_IJLi9EEEENST_IJLi10ELi11EEEENST_IJLi12ELi13EEEENST_IJLi14EEEES15_S16_S18_S17_NST_IJLi19ELi20EEEENST_IJLi21EEEEEEENST_IJLi19ELi21ELi20EEEElEENSB_INS5_IJSR_SP_SP_SR_SG_EEENS5_IJSU_SV_SW_SY_SX_EEENS5_IJNST_IJLi1ELi2EEEESX_SY_NST_IJLi5ELi6EEEES11_EEENST_IJLi5ELi7ELi6EEEElEENSB_INS5_IJSK_SP_SP_EEENS5_IJSU_SV_SW_EEENS5_IJS1M_SX_SY_EEENST_IJLi3ELi4EEEElEELi128ELi128ELi16ELi4ELi4ELi4ELi1ENST_IJLi8ELi2EEEES1W_NST_IJLi8ELi1ELi1ELi4EEEENST_IJLi2ELi1ELi128ELi1EEEENST_IJLi1ELi2ELi0ELi3EEEES1Z_NST_IJLi4ELi1ELi1ELi4EEEES1Z_NST_IJLi1ELi1ELi1ELi4EEEES1X_S1Y_S1Z_S1Z_S20_S1Z_S21_NST_IJLi0ELi1ELi2ELi3ELi4ELi5EEEELi5ELi4EEEaNS5_IJPKaEEEaS8_S8_S9_NSB_INS5_IJSE_SG_SI_SI_SG_SG_SK_SK_SG_SN_SN_SP_SP_SR_SG_SG_NSQ_INS5_IJiNS_17integral_constantIiLi128EEEEEELb0EEENSF_INS27_IiLi4EEEEEEEENS5_IJSU_SV_SW_SX_SY_SZ_S10_S11_S12_S13_S14_S15_S16_S17_S18_NST_IJLi19EEEES1G_NST_IJLi20EEEEEEENS5_IJS1A_SZ_S10_S11_S12_S1B_S1C_S1D_S1E_S15_S16_S18_S17_S1F_S1G_NST_IJLi22EEEENST_IJLi23ELi24EEEENST_IJLi25EEEEEEENST_IJLi22ELi23ELi24ELi25EEEElEENSB_INS5_IJSR_SP_SP_SR_SG_SG_S2A_S2C_EEENS5_IJSU_SV_SW_SY_SX_SZ_S11_S10_EEENS5_IJS1M_SX_SY_S1N_S11_S12_NST_IJLi9ELi10EEEENST_IJLi11EEEEEEENST_IJLi8ELi9ELi10ELi11EEEElEENS5_IJNSB_INS5_IJSK_SP_SP_NSQ_INS5_IJiNS27_IiLi2EEENS27_IiLi64EEEEEELb0EEES2X_EEENS5_IJSU_SV_SW_SX_SY_EEENS5_IJS1M_SX_SY_NST_IJLi5ELi6ELi7EEEENST_IJLi8ELi9ELi10EEEEEEENST_IJLi5ELi6ELi7ELi8ELi9ELi10EEEElEEEEES34_NS_31BlockToCTileMap_M00_N00_M01_N01ILi128ELi128ES1V_Lb0EEENS1_30ComputePtrOffsetOfStridedBatchILi1ELi1ELi1EvEELb0ELb1EEEvPKT0_S3C_T1_PT2_T3_T4_T5_iT6_T7_T8_T9_T10_T11_,"axG",@progbits,_ZN2ck16tensor_operation6device12_GLOBAL__N_137kernel_grouped_conv_fwd_dl_multiple_dINS_32GridwiseGemmDlMultipleD_km_kn_mnILi256EaiNS_5TupleIJaEEEaNS0_12element_wise11PassThroughES8_NS7_7AddReluELNS_25InMemoryDataOperationEnumE0ENS_16TensorDescriptorINS5_IJNS_5EmbedINS5_IJiiiiEEESD_Lb0EEENS_11PassThroughIiEENS_3PadIiiiLb0EEESI_SG_SG_NSC_INS5_IJiiEEESJ_Lb0EEESK_SG_NS_23Merge_v2_magic_divisionINS5_IJiiiEEEEESN_NS_8RightPadIiiLb0EEESP_NS_7UnMergeISJ_Lb0EEESG_EEENS5_IJNS_8SequenceIJLi0EEEENST_IJLi1EEEENST_IJLi2EEEENST_IJLi3EEEENST_IJLi4EEEENST_IJLi5EEEENST_IJLi6EEEENST_IJLi7EEEENST_IJLi8EEEENST_IJLi9ELi11ELi13EEEENST_IJLi10ELi12ELi14EEEENST_IJLi15EEEENST_IJLi16EEEENST_IJLi18EEEENST_IJLi17EEEEEEENS5_IJNST_IJLi1ELi2ELi3ELi4EEEESZ_S10_S11_S12_NST_IJLi9EEEENST_IJLi10ELi11EEEENST_IJLi12ELi13EEEENST_IJLi14EEEES15_S16_S18_S17_NST_IJLi19ELi20EEEENST_IJLi21EEEEEEENST_IJLi19ELi21ELi20EEEElEENSB_INS5_IJSR_SP_SP_SR_SG_EEENS5_IJSU_SV_SW_SY_SX_EEENS5_IJNST_IJLi1ELi2EEEESX_SY_NST_IJLi5ELi6EEEES11_EEENST_IJLi5ELi7ELi6EEEElEENSB_INS5_IJSK_SP_SP_EEENS5_IJSU_SV_SW_EEENS5_IJS1M_SX_SY_EEENST_IJLi3ELi4EEEElEELi128ELi128ELi16ELi4ELi4ELi4ELi1ENST_IJLi8ELi2EEEES1W_NST_IJLi8ELi1ELi1ELi4EEEENST_IJLi2ELi1ELi128ELi1EEEENST_IJLi1ELi2ELi0ELi3EEEES1Z_NST_IJLi4ELi1ELi1ELi4EEEES1Z_NST_IJLi1ELi1ELi1ELi4EEEES1X_S1Y_S1Z_S1Z_S20_S1Z_S21_NST_IJLi0ELi1ELi2ELi3ELi4ELi5EEEELi5ELi4EEEaNS5_IJPKaEEEaS8_S8_S9_NSB_INS5_IJSE_SG_SI_SI_SG_SG_SK_SK_SG_SN_SN_SP_SP_SR_SG_SG_NSQ_INS5_IJiNS_17integral_constantIiLi128EEEEEELb0EEENSF_INS27_IiLi4EEEEEEEENS5_IJSU_SV_SW_SX_SY_SZ_S10_S11_S12_S13_S14_S15_S16_S17_S18_NST_IJLi19EEEES1G_NST_IJLi20EEEEEEENS5_IJS1A_SZ_S10_S11_S12_S1B_S1C_S1D_S1E_S15_S16_S18_S17_S1F_S1G_NST_IJLi22EEEENST_IJLi23ELi24EEEENST_IJLi25EEEEEEENST_IJLi22ELi23ELi24ELi25EEEElEENSB_INS5_IJSR_SP_SP_SR_SG_SG_S2A_S2C_EEENS5_IJSU_SV_SW_SY_SX_SZ_S11_S10_EEENS5_IJS1M_SX_SY_S1N_S11_S12_NST_IJLi9ELi10EEEENST_IJLi11EEEEEEENST_IJLi8ELi9ELi10ELi11EEEElEENS5_IJNSB_INS5_IJSK_SP_SP_NSQ_INS5_IJiNS27_IiLi2EEENS27_IiLi64EEEEEELb0EEES2X_EEENS5_IJSU_SV_SW_SX_SY_EEENS5_IJS1M_SX_SY_NST_IJLi5ELi6ELi7EEEENST_IJLi8ELi9ELi10EEEEEEENST_IJLi5ELi6ELi7ELi8ELi9ELi10EEEElEEEEES34_NS_31BlockToCTileMap_M00_N00_M01_N01ILi128ELi128ES1V_Lb0EEENS1_30ComputePtrOffsetOfStridedBatchILi1ELi1ELi1EvEELb0ELb1EEEvPKT0_S3C_T1_PT2_T3_T4_T5_iT6_T7_T8_T9_T10_T11_,comdat
	.globl	_ZN2ck16tensor_operation6device12_GLOBAL__N_137kernel_grouped_conv_fwd_dl_multiple_dINS_32GridwiseGemmDlMultipleD_km_kn_mnILi256EaiNS_5TupleIJaEEEaNS0_12element_wise11PassThroughES8_NS7_7AddReluELNS_25InMemoryDataOperationEnumE0ENS_16TensorDescriptorINS5_IJNS_5EmbedINS5_IJiiiiEEESD_Lb0EEENS_11PassThroughIiEENS_3PadIiiiLb0EEESI_SG_SG_NSC_INS5_IJiiEEESJ_Lb0EEESK_SG_NS_23Merge_v2_magic_divisionINS5_IJiiiEEEEESN_NS_8RightPadIiiLb0EEESP_NS_7UnMergeISJ_Lb0EEESG_EEENS5_IJNS_8SequenceIJLi0EEEENST_IJLi1EEEENST_IJLi2EEEENST_IJLi3EEEENST_IJLi4EEEENST_IJLi5EEEENST_IJLi6EEEENST_IJLi7EEEENST_IJLi8EEEENST_IJLi9ELi11ELi13EEEENST_IJLi10ELi12ELi14EEEENST_IJLi15EEEENST_IJLi16EEEENST_IJLi18EEEENST_IJLi17EEEEEEENS5_IJNST_IJLi1ELi2ELi3ELi4EEEESZ_S10_S11_S12_NST_IJLi9EEEENST_IJLi10ELi11EEEENST_IJLi12ELi13EEEENST_IJLi14EEEES15_S16_S18_S17_NST_IJLi19ELi20EEEENST_IJLi21EEEEEEENST_IJLi19ELi21ELi20EEEElEENSB_INS5_IJSR_SP_SP_SR_SG_EEENS5_IJSU_SV_SW_SY_SX_EEENS5_IJNST_IJLi1ELi2EEEESX_SY_NST_IJLi5ELi6EEEES11_EEENST_IJLi5ELi7ELi6EEEElEENSB_INS5_IJSK_SP_SP_EEENS5_IJSU_SV_SW_EEENS5_IJS1M_SX_SY_EEENST_IJLi3ELi4EEEElEELi128ELi128ELi16ELi4ELi4ELi4ELi1ENST_IJLi8ELi2EEEES1W_NST_IJLi8ELi1ELi1ELi4EEEENST_IJLi2ELi1ELi128ELi1EEEENST_IJLi1ELi2ELi0ELi3EEEES1Z_NST_IJLi4ELi1ELi1ELi4EEEES1Z_NST_IJLi1ELi1ELi1ELi4EEEES1X_S1Y_S1Z_S1Z_S20_S1Z_S21_NST_IJLi0ELi1ELi2ELi3ELi4ELi5EEEELi5ELi4EEEaNS5_IJPKaEEEaS8_S8_S9_NSB_INS5_IJSE_SG_SI_SI_SG_SG_SK_SK_SG_SN_SN_SP_SP_SR_SG_SG_NSQ_INS5_IJiNS_17integral_constantIiLi128EEEEEELb0EEENSF_INS27_IiLi4EEEEEEEENS5_IJSU_SV_SW_SX_SY_SZ_S10_S11_S12_S13_S14_S15_S16_S17_S18_NST_IJLi19EEEES1G_NST_IJLi20EEEEEEENS5_IJS1A_SZ_S10_S11_S12_S1B_S1C_S1D_S1E_S15_S16_S18_S17_S1F_S1G_NST_IJLi22EEEENST_IJLi23ELi24EEEENST_IJLi25EEEEEEENST_IJLi22ELi23ELi24ELi25EEEElEENSB_INS5_IJSR_SP_SP_SR_SG_SG_S2A_S2C_EEENS5_IJSU_SV_SW_SY_SX_SZ_S11_S10_EEENS5_IJS1M_SX_SY_S1N_S11_S12_NST_IJLi9ELi10EEEENST_IJLi11EEEEEEENST_IJLi8ELi9ELi10ELi11EEEElEENS5_IJNSB_INS5_IJSK_SP_SP_NSQ_INS5_IJiNS27_IiLi2EEENS27_IiLi64EEEEEELb0EEES2X_EEENS5_IJSU_SV_SW_SX_SY_EEENS5_IJS1M_SX_SY_NST_IJLi5ELi6ELi7EEEENST_IJLi8ELi9ELi10EEEEEEENST_IJLi5ELi6ELi7ELi8ELi9ELi10EEEElEEEEES34_NS_31BlockToCTileMap_M00_N00_M01_N01ILi128ELi128ES1V_Lb0EEENS1_30ComputePtrOffsetOfStridedBatchILi1ELi1ELi1EvEELb0ELb1EEEvPKT0_S3C_T1_PT2_T3_T4_T5_iT6_T7_T8_T9_T10_T11_ ; -- Begin function _ZN2ck16tensor_operation6device12_GLOBAL__N_137kernel_grouped_conv_fwd_dl_multiple_dINS_32GridwiseGemmDlMultipleD_km_kn_mnILi256EaiNS_5TupleIJaEEEaNS0_12element_wise11PassThroughES8_NS7_7AddReluELNS_25InMemoryDataOperationEnumE0ENS_16TensorDescriptorINS5_IJNS_5EmbedINS5_IJiiiiEEESD_Lb0EEENS_11PassThroughIiEENS_3PadIiiiLb0EEESI_SG_SG_NSC_INS5_IJiiEEESJ_Lb0EEESK_SG_NS_23Merge_v2_magic_divisionINS5_IJiiiEEEEESN_NS_8RightPadIiiLb0EEESP_NS_7UnMergeISJ_Lb0EEESG_EEENS5_IJNS_8SequenceIJLi0EEEENST_IJLi1EEEENST_IJLi2EEEENST_IJLi3EEEENST_IJLi4EEEENST_IJLi5EEEENST_IJLi6EEEENST_IJLi7EEEENST_IJLi8EEEENST_IJLi9ELi11ELi13EEEENST_IJLi10ELi12ELi14EEEENST_IJLi15EEEENST_IJLi16EEEENST_IJLi18EEEENST_IJLi17EEEEEEENS5_IJNST_IJLi1ELi2ELi3ELi4EEEESZ_S10_S11_S12_NST_IJLi9EEEENST_IJLi10ELi11EEEENST_IJLi12ELi13EEEENST_IJLi14EEEES15_S16_S18_S17_NST_IJLi19ELi20EEEENST_IJLi21EEEEEEENST_IJLi19ELi21ELi20EEEElEENSB_INS5_IJSR_SP_SP_SR_SG_EEENS5_IJSU_SV_SW_SY_SX_EEENS5_IJNST_IJLi1ELi2EEEESX_SY_NST_IJLi5ELi6EEEES11_EEENST_IJLi5ELi7ELi6EEEElEENSB_INS5_IJSK_SP_SP_EEENS5_IJSU_SV_SW_EEENS5_IJS1M_SX_SY_EEENST_IJLi3ELi4EEEElEELi128ELi128ELi16ELi4ELi4ELi4ELi1ENST_IJLi8ELi2EEEES1W_NST_IJLi8ELi1ELi1ELi4EEEENST_IJLi2ELi1ELi128ELi1EEEENST_IJLi1ELi2ELi0ELi3EEEES1Z_NST_IJLi4ELi1ELi1ELi4EEEES1Z_NST_IJLi1ELi1ELi1ELi4EEEES1X_S1Y_S1Z_S1Z_S20_S1Z_S21_NST_IJLi0ELi1ELi2ELi3ELi4ELi5EEEELi5ELi4EEEaNS5_IJPKaEEEaS8_S8_S9_NSB_INS5_IJSE_SG_SI_SI_SG_SG_SK_SK_SG_SN_SN_SP_SP_SR_SG_SG_NSQ_INS5_IJiNS_17integral_constantIiLi128EEEEEELb0EEENSF_INS27_IiLi4EEEEEEEENS5_IJSU_SV_SW_SX_SY_SZ_S10_S11_S12_S13_S14_S15_S16_S17_S18_NST_IJLi19EEEES1G_NST_IJLi20EEEEEEENS5_IJS1A_SZ_S10_S11_S12_S1B_S1C_S1D_S1E_S15_S16_S18_S17_S1F_S1G_NST_IJLi22EEEENST_IJLi23ELi24EEEENST_IJLi25EEEEEEENST_IJLi22ELi23ELi24ELi25EEEElEENSB_INS5_IJSR_SP_SP_SR_SG_SG_S2A_S2C_EEENS5_IJSU_SV_SW_SY_SX_SZ_S11_S10_EEENS5_IJS1M_SX_SY_S1N_S11_S12_NST_IJLi9ELi10EEEENST_IJLi11EEEEEEENST_IJLi8ELi9ELi10ELi11EEEElEENS5_IJNSB_INS5_IJSK_SP_SP_NSQ_INS5_IJiNS27_IiLi2EEENS27_IiLi64EEEEEELb0EEES2X_EEENS5_IJSU_SV_SW_SX_SY_EEENS5_IJS1M_SX_SY_NST_IJLi5ELi6ELi7EEEENST_IJLi8ELi9ELi10EEEEEEENST_IJLi5ELi6ELi7ELi8ELi9ELi10EEEElEEEEES34_NS_31BlockToCTileMap_M00_N00_M01_N01ILi128ELi128ES1V_Lb0EEENS1_30ComputePtrOffsetOfStridedBatchILi1ELi1ELi1EvEELb0ELb1EEEvPKT0_S3C_T1_PT2_T3_T4_T5_iT6_T7_T8_T9_T10_T11_
	.p2align	8
	.type	_ZN2ck16tensor_operation6device12_GLOBAL__N_137kernel_grouped_conv_fwd_dl_multiple_dINS_32GridwiseGemmDlMultipleD_km_kn_mnILi256EaiNS_5TupleIJaEEEaNS0_12element_wise11PassThroughES8_NS7_7AddReluELNS_25InMemoryDataOperationEnumE0ENS_16TensorDescriptorINS5_IJNS_5EmbedINS5_IJiiiiEEESD_Lb0EEENS_11PassThroughIiEENS_3PadIiiiLb0EEESI_SG_SG_NSC_INS5_IJiiEEESJ_Lb0EEESK_SG_NS_23Merge_v2_magic_divisionINS5_IJiiiEEEEESN_NS_8RightPadIiiLb0EEESP_NS_7UnMergeISJ_Lb0EEESG_EEENS5_IJNS_8SequenceIJLi0EEEENST_IJLi1EEEENST_IJLi2EEEENST_IJLi3EEEENST_IJLi4EEEENST_IJLi5EEEENST_IJLi6EEEENST_IJLi7EEEENST_IJLi8EEEENST_IJLi9ELi11ELi13EEEENST_IJLi10ELi12ELi14EEEENST_IJLi15EEEENST_IJLi16EEEENST_IJLi18EEEENST_IJLi17EEEEEEENS5_IJNST_IJLi1ELi2ELi3ELi4EEEESZ_S10_S11_S12_NST_IJLi9EEEENST_IJLi10ELi11EEEENST_IJLi12ELi13EEEENST_IJLi14EEEES15_S16_S18_S17_NST_IJLi19ELi20EEEENST_IJLi21EEEEEEENST_IJLi19ELi21ELi20EEEElEENSB_INS5_IJSR_SP_SP_SR_SG_EEENS5_IJSU_SV_SW_SY_SX_EEENS5_IJNST_IJLi1ELi2EEEESX_SY_NST_IJLi5ELi6EEEES11_EEENST_IJLi5ELi7ELi6EEEElEENSB_INS5_IJSK_SP_SP_EEENS5_IJSU_SV_SW_EEENS5_IJS1M_SX_SY_EEENST_IJLi3ELi4EEEElEELi128ELi128ELi16ELi4ELi4ELi4ELi1ENST_IJLi8ELi2EEEES1W_NST_IJLi8ELi1ELi1ELi4EEEENST_IJLi2ELi1ELi128ELi1EEEENST_IJLi1ELi2ELi0ELi3EEEES1Z_NST_IJLi4ELi1ELi1ELi4EEEES1Z_NST_IJLi1ELi1ELi1ELi4EEEES1X_S1Y_S1Z_S1Z_S20_S1Z_S21_NST_IJLi0ELi1ELi2ELi3ELi4ELi5EEEELi5ELi4EEEaNS5_IJPKaEEEaS8_S8_S9_NSB_INS5_IJSE_SG_SI_SI_SG_SG_SK_SK_SG_SN_SN_SP_SP_SR_SG_SG_NSQ_INS5_IJiNS_17integral_constantIiLi128EEEEEELb0EEENSF_INS27_IiLi4EEEEEEEENS5_IJSU_SV_SW_SX_SY_SZ_S10_S11_S12_S13_S14_S15_S16_S17_S18_NST_IJLi19EEEES1G_NST_IJLi20EEEEEEENS5_IJS1A_SZ_S10_S11_S12_S1B_S1C_S1D_S1E_S15_S16_S18_S17_S1F_S1G_NST_IJLi22EEEENST_IJLi23ELi24EEEENST_IJLi25EEEEEEENST_IJLi22ELi23ELi24ELi25EEEElEENSB_INS5_IJSR_SP_SP_SR_SG_SG_S2A_S2C_EEENS5_IJSU_SV_SW_SY_SX_SZ_S11_S10_EEENS5_IJS1M_SX_SY_S1N_S11_S12_NST_IJLi9ELi10EEEENST_IJLi11EEEEEEENST_IJLi8ELi9ELi10ELi11EEEElEENS5_IJNSB_INS5_IJSK_SP_SP_NSQ_INS5_IJiNS27_IiLi2EEENS27_IiLi64EEEEEELb0EEES2X_EEENS5_IJSU_SV_SW_SX_SY_EEENS5_IJS1M_SX_SY_NST_IJLi5ELi6ELi7EEEENST_IJLi8ELi9ELi10EEEEEEENST_IJLi5ELi6ELi7ELi8ELi9ELi10EEEElEEEEES34_NS_31BlockToCTileMap_M00_N00_M01_N01ILi128ELi128ES1V_Lb0EEENS1_30ComputePtrOffsetOfStridedBatchILi1ELi1ELi1EvEELb0ELb1EEEvPKT0_S3C_T1_PT2_T3_T4_T5_iT6_T7_T8_T9_T10_T11_,@function
_ZN2ck16tensor_operation6device12_GLOBAL__N_137kernel_grouped_conv_fwd_dl_multiple_dINS_32GridwiseGemmDlMultipleD_km_kn_mnILi256EaiNS_5TupleIJaEEEaNS0_12element_wise11PassThroughES8_NS7_7AddReluELNS_25InMemoryDataOperationEnumE0ENS_16TensorDescriptorINS5_IJNS_5EmbedINS5_IJiiiiEEESD_Lb0EEENS_11PassThroughIiEENS_3PadIiiiLb0EEESI_SG_SG_NSC_INS5_IJiiEEESJ_Lb0EEESK_SG_NS_23Merge_v2_magic_divisionINS5_IJiiiEEEEESN_NS_8RightPadIiiLb0EEESP_NS_7UnMergeISJ_Lb0EEESG_EEENS5_IJNS_8SequenceIJLi0EEEENST_IJLi1EEEENST_IJLi2EEEENST_IJLi3EEEENST_IJLi4EEEENST_IJLi5EEEENST_IJLi6EEEENST_IJLi7EEEENST_IJLi8EEEENST_IJLi9ELi11ELi13EEEENST_IJLi10ELi12ELi14EEEENST_IJLi15EEEENST_IJLi16EEEENST_IJLi18EEEENST_IJLi17EEEEEEENS5_IJNST_IJLi1ELi2ELi3ELi4EEEESZ_S10_S11_S12_NST_IJLi9EEEENST_IJLi10ELi11EEEENST_IJLi12ELi13EEEENST_IJLi14EEEES15_S16_S18_S17_NST_IJLi19ELi20EEEENST_IJLi21EEEEEEENST_IJLi19ELi21ELi20EEEElEENSB_INS5_IJSR_SP_SP_SR_SG_EEENS5_IJSU_SV_SW_SY_SX_EEENS5_IJNST_IJLi1ELi2EEEESX_SY_NST_IJLi5ELi6EEEES11_EEENST_IJLi5ELi7ELi6EEEElEENSB_INS5_IJSK_SP_SP_EEENS5_IJSU_SV_SW_EEENS5_IJS1M_SX_SY_EEENST_IJLi3ELi4EEEElEELi128ELi128ELi16ELi4ELi4ELi4ELi1ENST_IJLi8ELi2EEEES1W_NST_IJLi8ELi1ELi1ELi4EEEENST_IJLi2ELi1ELi128ELi1EEEENST_IJLi1ELi2ELi0ELi3EEEES1Z_NST_IJLi4ELi1ELi1ELi4EEEES1Z_NST_IJLi1ELi1ELi1ELi4EEEES1X_S1Y_S1Z_S1Z_S20_S1Z_S21_NST_IJLi0ELi1ELi2ELi3ELi4ELi5EEEELi5ELi4EEEaNS5_IJPKaEEEaS8_S8_S9_NSB_INS5_IJSE_SG_SI_SI_SG_SG_SK_SK_SG_SN_SN_SP_SP_SR_SG_SG_NSQ_INS5_IJiNS_17integral_constantIiLi128EEEEEELb0EEENSF_INS27_IiLi4EEEEEEEENS5_IJSU_SV_SW_SX_SY_SZ_S10_S11_S12_S13_S14_S15_S16_S17_S18_NST_IJLi19EEEES1G_NST_IJLi20EEEEEEENS5_IJS1A_SZ_S10_S11_S12_S1B_S1C_S1D_S1E_S15_S16_S18_S17_S1F_S1G_NST_IJLi22EEEENST_IJLi23ELi24EEEENST_IJLi25EEEEEEENST_IJLi22ELi23ELi24ELi25EEEElEENSB_INS5_IJSR_SP_SP_SR_SG_SG_S2A_S2C_EEENS5_IJSU_SV_SW_SY_SX_SZ_S11_S10_EEENS5_IJS1M_SX_SY_S1N_S11_S12_NST_IJLi9ELi10EEEENST_IJLi11EEEEEEENST_IJLi8ELi9ELi10ELi11EEEElEENS5_IJNSB_INS5_IJSK_SP_SP_NSQ_INS5_IJiNS27_IiLi2EEENS27_IiLi64EEEEEELb0EEES2X_EEENS5_IJSU_SV_SW_SX_SY_EEENS5_IJS1M_SX_SY_NST_IJLi5ELi6ELi7EEEENST_IJLi8ELi9ELi10EEEEEEENST_IJLi5ELi6ELi7ELi8ELi9ELi10EEEElEEEEES34_NS_31BlockToCTileMap_M00_N00_M01_N01ILi128ELi128ES1V_Lb0EEENS1_30ComputePtrOffsetOfStridedBatchILi1ELi1ELi1EvEELb0ELb1EEEvPKT0_S3C_T1_PT2_T3_T4_T5_iT6_T7_T8_T9_T10_T11_: ; @_ZN2ck16tensor_operation6device12_GLOBAL__N_137kernel_grouped_conv_fwd_dl_multiple_dINS_32GridwiseGemmDlMultipleD_km_kn_mnILi256EaiNS_5TupleIJaEEEaNS0_12element_wise11PassThroughES8_NS7_7AddReluELNS_25InMemoryDataOperationEnumE0ENS_16TensorDescriptorINS5_IJNS_5EmbedINS5_IJiiiiEEESD_Lb0EEENS_11PassThroughIiEENS_3PadIiiiLb0EEESI_SG_SG_NSC_INS5_IJiiEEESJ_Lb0EEESK_SG_NS_23Merge_v2_magic_divisionINS5_IJiiiEEEEESN_NS_8RightPadIiiLb0EEESP_NS_7UnMergeISJ_Lb0EEESG_EEENS5_IJNS_8SequenceIJLi0EEEENST_IJLi1EEEENST_IJLi2EEEENST_IJLi3EEEENST_IJLi4EEEENST_IJLi5EEEENST_IJLi6EEEENST_IJLi7EEEENST_IJLi8EEEENST_IJLi9ELi11ELi13EEEENST_IJLi10ELi12ELi14EEEENST_IJLi15EEEENST_IJLi16EEEENST_IJLi18EEEENST_IJLi17EEEEEEENS5_IJNST_IJLi1ELi2ELi3ELi4EEEESZ_S10_S11_S12_NST_IJLi9EEEENST_IJLi10ELi11EEEENST_IJLi12ELi13EEEENST_IJLi14EEEES15_S16_S18_S17_NST_IJLi19ELi20EEEENST_IJLi21EEEEEEENST_IJLi19ELi21ELi20EEEElEENSB_INS5_IJSR_SP_SP_SR_SG_EEENS5_IJSU_SV_SW_SY_SX_EEENS5_IJNST_IJLi1ELi2EEEESX_SY_NST_IJLi5ELi6EEEES11_EEENST_IJLi5ELi7ELi6EEEElEENSB_INS5_IJSK_SP_SP_EEENS5_IJSU_SV_SW_EEENS5_IJS1M_SX_SY_EEENST_IJLi3ELi4EEEElEELi128ELi128ELi16ELi4ELi4ELi4ELi1ENST_IJLi8ELi2EEEES1W_NST_IJLi8ELi1ELi1ELi4EEEENST_IJLi2ELi1ELi128ELi1EEEENST_IJLi1ELi2ELi0ELi3EEEES1Z_NST_IJLi4ELi1ELi1ELi4EEEES1Z_NST_IJLi1ELi1ELi1ELi4EEEES1X_S1Y_S1Z_S1Z_S20_S1Z_S21_NST_IJLi0ELi1ELi2ELi3ELi4ELi5EEEELi5ELi4EEEaNS5_IJPKaEEEaS8_S8_S9_NSB_INS5_IJSE_SG_SI_SI_SG_SG_SK_SK_SG_SN_SN_SP_SP_SR_SG_SG_NSQ_INS5_IJiNS_17integral_constantIiLi128EEEEEELb0EEENSF_INS27_IiLi4EEEEEEEENS5_IJSU_SV_SW_SX_SY_SZ_S10_S11_S12_S13_S14_S15_S16_S17_S18_NST_IJLi19EEEES1G_NST_IJLi20EEEEEEENS5_IJS1A_SZ_S10_S11_S12_S1B_S1C_S1D_S1E_S15_S16_S18_S17_S1F_S1G_NST_IJLi22EEEENST_IJLi23ELi24EEEENST_IJLi25EEEEEEENST_IJLi22ELi23ELi24ELi25EEEElEENSB_INS5_IJSR_SP_SP_SR_SG_SG_S2A_S2C_EEENS5_IJSU_SV_SW_SY_SX_SZ_S11_S10_EEENS5_IJS1M_SX_SY_S1N_S11_S12_NST_IJLi9ELi10EEEENST_IJLi11EEEEEEENST_IJLi8ELi9ELi10ELi11EEEElEENS5_IJNSB_INS5_IJSK_SP_SP_NSQ_INS5_IJiNS27_IiLi2EEENS27_IiLi64EEEEEELb0EEES2X_EEENS5_IJSU_SV_SW_SX_SY_EEENS5_IJS1M_SX_SY_NST_IJLi5ELi6ELi7EEEENST_IJLi8ELi9ELi10EEEEEEENST_IJLi5ELi6ELi7ELi8ELi9ELi10EEEElEEEEES34_NS_31BlockToCTileMap_M00_N00_M01_N01ILi128ELi128ES1V_Lb0EEENS1_30ComputePtrOffsetOfStridedBatchILi1ELi1ELi1EvEELb0ELb1EEEvPKT0_S3C_T1_PT2_T3_T4_T5_iT6_T7_T8_T9_T10_T11_
; %bb.0:
	s_clause 0x2
	s_load_b32 s3, s[0:1], 0x24
	s_load_b128 s[28:31], s[0:1], 0x38
	s_load_b32 s4, s[0:1], 0x2c8
	s_mov_b64 s[12:13], src_shared_base
	s_mov_b32 s48, 0
	s_clause 0x1
	s_load_b128 s[40:43], s[0:1], 0x4c
	s_load_b64 s[64:65], s[0:1], 0x5c
	s_mov_b32 s49, s48
	s_mov_b32 s50, s48
	;; [unrolled: 1-line block ×3, first 2 shown]
	v_dual_mov_b32 v17, s13 :: v_dual_mov_b32 v38, s48
	v_dual_mov_b32 v39, s49 :: v_dual_mov_b32 v40, s50
	v_dual_mov_b32 v41, s51 :: v_dual_lshlrev_b32 v2, 3, v0
	v_lshrrev_b32_e32 v23, 1, v0
	v_lshrrev_b32_e32 v6, 5, v0
	s_movk_i32 s32, 0x1e0
	v_mov_b32_e32 v34, 0
	v_and_b32_e32 v24, 8, v2
	s_waitcnt lgkmcnt(0)
	s_abs_i32 s2, s3
	v_lshlrev_b32_e32 v14, 6, v6
	v_cvt_f32_u32_e32 v1, s2
	s_sub_i32 s6, 0, s2
	s_abs_i32 s7, s4
	s_xor_b32 s3, s4, s3
	v_mov_b32_e32 v3, v34
	v_rcp_iflag_f32_e32 v1, v1
	s_ashr_i32 s14, s3, 31
	v_mov_b32_e32 v11, v34
	v_dual_mov_b32 v13, v34 :: v_dual_lshlrev_b32 v8, 1, v0
	v_dual_mov_b32 v7, v34 :: v_dual_lshlrev_b32 v0, 2, v0
	s_delay_alu instid0(VALU_DEP_2) | instskip(SKIP_3) | instid1(VALU_DEP_2)
	v_and_b32_e32 v10, 0x1f8, v8
	s_waitcnt_depctr 0xfff
	v_mul_f32_e32 v1, 0x4f7ffffe, v1
	v_and_b32_e32 v8, 0x1fc, v8
	v_cvt_u32_f32_e32 v1, v1
	s_delay_alu instid0(VALU_DEP_1) | instskip(NEXT) | instid1(VALU_DEP_1)
	v_readfirstlane_b32 s5, v1
	s_mul_i32 s6, s6, s5
	s_delay_alu instid0(SALU_CYCLE_1) | instskip(NEXT) | instid1(SALU_CYCLE_1)
	s_mul_hi_u32 s6, s5, s6
	s_add_i32 s5, s5, s6
	s_delay_alu instid0(SALU_CYCLE_1) | instskip(NEXT) | instid1(SALU_CYCLE_1)
	s_mul_hi_u32 s5, s7, s5
	s_mul_i32 s4, s5, s2
	s_delay_alu instid0(SALU_CYCLE_1)
	s_sub_i32 s3, s7, s4
	s_add_i32 s4, s5, 1
	s_sub_i32 s6, s3, s2
	s_cmp_ge_u32 s3, s2
	s_cselect_b32 s12, s4, s5
	s_cselect_b32 s3, s6, s3
	s_add_i32 s16, s12, 1
	s_cmp_ge_u32 s3, s2
	s_load_b256 s[4:11], s[0:1], 0x0
	s_cselect_b32 s2, s16, s12
	s_abs_i32 s36, s15
	s_xor_b32 s12, s2, s14
	s_clause 0x3
	s_load_b64 s[66:67], s[0:1], 0x74
	s_load_b64 s[68:69], s[0:1], 0x84
	;; [unrolled: 1-line block ×4, first 2 shown]
	s_sub_i32 s12, s12, s14
	s_clause 0x3
	s_load_b64 s[76:77], s[0:1], 0xac
	s_load_b64 s[70:71], s[0:1], 0xbc
	s_load_b64 s[74:75], s[0:1], 0xc8
	s_load_b64 s[72:73], s[0:1], 0xd4
	s_abs_i32 s24, s12
	s_clause 0x5
	s_load_b32 s81, s[0:1], 0x100
	s_load_b32 s26, s[0:1], 0x128
	;; [unrolled: 1-line block ×6, first 2 shown]
	v_cvt_f32_u32_e32 v1, s24
	s_sub_i32 s25, 0, s24
	s_clause 0xa
	s_load_b32 s46, s[0:1], 0x188
	s_load_b64 s[34:35], s[0:1], 0x198
	s_load_b32 s33, s[0:1], 0x1a4
	s_load_b32 s80, s[0:1], 0x1b0
	;; [unrolled: 1-line block ×5, first 2 shown]
	s_load_b128 s[52:55], s[0:1], 0x260
	s_load_b128 s[60:63], s[0:1], 0x274
	;; [unrolled: 1-line block ×3, first 2 shown]
	s_load_b256 s[16:23], s[0:1], 0x2a0
	s_xor_b32 s12, s15, s12
	v_rcp_iflag_f32_e32 v1, v1
	s_ashr_i32 s12, s12, 31
	s_clause 0xb
	scratch_store_b128 off, v[38:41], off offset:144
	scratch_store_b128 off, v[38:41], off offset:160
	;; [unrolled: 1-line block ×12, first 2 shown]
	s_waitcnt lgkmcnt(0)
	v_mul_lo_u32 v25, s81, v24
	v_mul_f32_e32 v1, 0x4f7ffffe, v1
	v_mul_lo_u32 v18, s14, v24
	s_delay_alu instid0(VALU_DEP_2) | instskip(SKIP_1) | instid1(VALU_DEP_4)
	v_cvt_u32_f32_e32 v5, v1
	s_mul_hi_u32 s48, s63, s15
	v_mul_hi_u32 v2, v25, s75
	v_mov_b32_e32 v9, v34
	v_mov_b32_e32 v1, v34
	v_readfirstlane_b32 s13, v5
	s_delay_alu instid0(VALU_DEP_4) | instskip(NEXT) | instid1(VALU_DEP_2)
	v_dual_mov_b32 v5, v34 :: v_dual_add_nc_u32 v2, v25, v2
	s_mul_i32 s25, s25, s13
	s_delay_alu instid0(SALU_CYCLE_1) | instskip(NEXT) | instid1(SALU_CYCLE_1)
	s_mul_hi_u32 s25, s13, s25
	s_add_i32 s13, s13, s25
	s_delay_alu instid0(VALU_DEP_1)
	v_lshrrev_b32_e32 v20, s73, v2
	s_mul_hi_u32 s13, s36, s13
	v_sub_nc_u32_e32 v2, v8, v10
	s_mul_i32 s25, s13, s24
	v_sub_nc_u32_e32 v8, v10, v14
	s_sub_i32 s25, s36, s25
	s_add_i32 s36, s13, 1
	s_sub_i32 s37, s25, s24
	s_cmp_ge_u32 s25, s24
	v_mul_hi_u32 v10, v20, s74
	s_cselect_b32 s13, s36, s13
	s_cselect_b32 s25, s37, s25
	s_add_i32 s36, s13, 1
	s_cmp_ge_u32 s25, s24
	v_mov_b32_e32 v36, v34
	s_cselect_b32 s13, s36, s13
	v_lshl_add_u32 v35, v6, 3, v2
	v_add_nc_u32_e32 v19, v20, v10
	s_xor_b32 s13, s13, s12
	v_and_or_b32 v37, v0, 4, v8
	s_sub_i32 s12, s13, s12
	v_dual_mov_b32 v15, v34 :: v_dual_lshlrev_b32 v0, 2, v35
	s_ashr_i32 s13, s12, 31
	s_mul_hi_u32 s24, s16, s12
	s_mul_i32 s25, s16, s12
	s_mul_hi_u32 s36, s18, s12
	s_mul_i32 s44, s18, s12
	;; [unrolled: 2-line block ×4, first 2 shown]
	s_mul_i32 s18, s18, s13
	s_mul_i32 s22, s22, s13
	;; [unrolled: 1-line block ×8, first 2 shown]
	s_add_i32 s16, s24, s16
	s_add_i32 s18, s36, s18
	;; [unrolled: 1-line block ×8, first 2 shown]
	s_add_u32 s36, s8, s12
	s_addc_u32 s37, s9, s13
	s_add_u32 s24, s4, s25
	s_addc_u32 s25, s5, s16
	;; [unrolled: 2-line block ×4, first 2 shown]
	s_add_i32 s4, s15, s48
	s_lshl_b32 s16, s81, 2
	s_lshr_b32 s4, s4, s59
	v_mov_b32_e32 v4, v34
	s_mul_hi_u32 s5, s4, s62
	v_lshrrev_b32_e32 v27, s72, v19
	v_add_nc_u32_e32 v19, s16, v25
	s_add_i32 s5, s4, s5
	s_lshl_b32 s23, s14, 2
	s_lshr_b32 s5, s5, s58
	v_mov_b32_e32 v16, v34
	s_mul_hi_u32 s6, s5, s61
	s_mul_i32 s8, s5, s54
	s_add_i32 s6, s5, s6
	s_sub_i32 s8, s4, s8
	s_lshr_b32 s6, s6, s57
	v_mul_hi_u32 v30, v19, s75
	s_mul_hi_u32 s7, s6, s60
	v_mov_b32_e32 v2, v35
	s_add_i32 s7, s6, s7
	v_mov_b32_e32 v6, v35
	s_lshr_b32 s7, s7, s56
	v_mul_lo_u32 v28, v27, s70
	s_mul_i32 s7, s7, s52
	v_lshlrev_b32_e32 v8, 2, v37
	s_sub_i32 s7, s6, s7
	v_mov_b32_e32 v10, v37
	s_mul_i32 s7, s7, s47
	scratch_store_b64 off, v[16:17], off offset:400
	s_add_i32 s8, s8, s7
	s_clause 0x3
	scratch_store_b128 off, v[34:37], off offset:64
	scratch_store_b128 off, v[0:3], off offset:80
	;; [unrolled: 1-line block ×4, first 2 shown]
	s_lshl_b32 s22, s8, 7
	v_dual_mov_b32 v12, v34 :: v_dual_add_nc_u32 v1, v19, v30
	v_or_b32_e32 v26, s22, v23
	v_sub_nc_u32_e32 v3, v20, v28
	v_mul_lo_u32 v22, v20, s71
	s_mul_i32 s6, s6, s53
	v_lshrrev_b32_e32 v6, s73, v1
	v_mul_hi_u32 v14, v26, s79
	v_mul_lo_u32 v1, v27, s66
	s_mul_i32 s4, s4, s55
	s_sub_i32 s5, s5, s6
	v_mul_hi_u32 v8, v6, s74
	s_sub_i32 s4, s15, s4
	s_mul_i32 s5, s5, s83
	v_sub_nc_u32_e32 v2, v25, v22
	v_add_nc_u32_e32 v14, v26, v14
	s_add_i32 s4, s4, s5
	v_mov_b32_e32 v16, 0x4000
	s_lshl_b32 s15, s4, 7
	v_add_nc_u32_e32 v8, v6, v8
	v_lshrrev_b32_e32 v21, s77, v14
	v_or_b32_e32 v28, s15, v23
	s_sub_i32 s43, s43, s65
	v_cmp_gt_i32_e64 s4, s39, v18
	v_lshlrev_b32_e32 v23, 2, v23
	v_mul_hi_u32 v29, v21, s78
	v_mul_lo_u32 v4, v21, s3
	v_cmp_gt_i32_e32 vcc_lo, s82, v28
	s_mul_i32 s14, s14, 12
	s_delay_alu instid0(VALU_DEP_3) | instskip(NEXT) | instid1(VALU_DEP_3)
	v_add_nc_u32_e32 v0, v21, v29
	v_sub_nc_u32_e32 v4, v26, v4
	s_delay_alu instid0(VALU_DEP_2) | instskip(SKIP_1) | instid1(VALU_DEP_2)
	v_lshrrev_b32_e32 v5, s76, v0
	v_mul_lo_u32 v0, v3, s68
	v_mul_lo_u32 v7, v5, s2
	s_delay_alu instid0(VALU_DEP_1) | instskip(NEXT) | instid1(VALU_DEP_3)
	v_sub_nc_u32_e32 v7, v21, v7
	v_mad_u64_u32 v[20:21], null, v4, s69, v[0:1]
	v_mul_lo_u32 v4, v2, s31
	s_delay_alu instid0(VALU_DEP_3) | instskip(SKIP_3) | instid1(VALU_DEP_3)
	v_mad_u64_u32 v[21:22], null, v7, s67, v[1:2]
	v_lshrrev_b32_e32 v22, s72, v8
	v_mad_u64_u32 v[0:1], null, v28, s27, v[18:19]
	v_mad_u64_u32 v[74:75], null, s81, 12, v[19:20]
	v_mul_lo_u32 v1, v22, s70
	v_mul_lo_u32 v8, v6, s71
	v_subrev_nc_u32_e32 v7, s41, v21
	s_mov_b32 s27, 0x31004000
	v_cmp_le_i32_e64 s6, s64, v20
	s_mov_b32 s47, s27
	v_dual_mov_b32 v14, v37 :: v_dual_add_nc_u32 v75, s16, v74
	v_sub_nc_u32_e32 v29, v6, v1
	v_sub_nc_u32_e32 v30, v19, v8
	v_cmp_gt_i32_e64 s7, s43, v20
	v_cmp_le_i32_e64 s9, s41, v21
	s_clause 0x3
	scratch_store_b128 off, v[12:15], off offset:128
	scratch_store_b128 off, v[38:41], off offset:336
	;; [unrolled: 1-line block ×3, first 2 shown]
	scratch_store_b64 off, v[16:17], off offset:416
	v_mov_b32_e32 v16, 0x2000
	v_mul_lo_u32 v12, v5, s28
	v_subrev_nc_u32_e32 v5, s64, v20
	s_clause 0x3
	scratch_store_b128 off, v[38:41], off offset:368
	scratch_store_b128 off, v[38:41], off offset:384
	scratch_store_b8 off, v34, off offset:409
	scratch_store_b8 off, v34, off offset:425
	v_sub_nc_u32_e32 v1, v29, v3
	s_clause 0x1
	scratch_store_b64 off, v[16:17], off offset:432
	scratch_store_b8 off, v34, off offset:441
	v_mov_b32_e32 v16, 0x6000
	v_sub_nc_u32_e32 v3, v22, v27
	v_sub_nc_u32_e32 v6, v30, v2
	s_clause 0x1
	scratch_store_b64 off, v[16:17], off offset:448
	scratch_store_b8 off, v34, off offset:457
	v_mul_lo_u32 v16, v1, s68
	v_mul_lo_u32 v17, v3, s66
	;; [unrolled: 1-line block ×3, first 2 shown]
	v_mad_u64_u32 v[9:10], null, v5, s30, v[4:5]
	v_mul_lo_u32 v13, v7, s29
	v_add_nc_u32_e32 v27, s23, v0
	buffer_load_b128 v[0:3], v0, s[44:47], 0 offen
	v_mul_lo_u32 v14, v16, s30
	v_add_nc_u32_e32 v76, v20, v16
	v_add_nc_u32_e32 v77, v21, v17
	v_mad_u64_u32 v[10:11], null, v17, s29, v[8:9]
	buffer_load_b128 v[4:7], v27, s[44:47], 0 offen
	v_add3_u32 v8, v9, v12, v13
	s_sub_i32 s28, s40, s42
	s_and_b32 s11, s6, s7
	v_cmp_le_i32_e64 s6, s64, v76
	v_cmp_gt_i32_e64 s7, s43, v76
	v_add3_u32 v31, v10, v14, v8
	s_clause 0x1
	buffer_load_b128 v[8:11], v8, s[24:27], 0 offen
	buffer_load_b128 v[12:15], v31, s[24:27], 0 offen
	s_clause 0x1
	s_load_b32 s48, s[0:1], 0xf0
	s_load_b32 s2, s[0:1], 0xe4
	v_cmp_gt_i32_e64 s10, s28, v21
	s_and_b32 s6, s6, s7
	v_lshl_or_b32 v34, v24, 9, v23
	s_delay_alu instid0(VALU_DEP_2) | instskip(SKIP_4) | instid1(VALU_DEP_3)
	s_and_b32 s7, s9, s10
	s_waitcnt lgkmcnt(0)
	v_cmp_gt_i32_e64 s3, s48, v25
	v_cmp_gt_i32_e64 s5, s48, v19
	;; [unrolled: 1-line block ×3, first 2 shown]
	s_and_b32 s17, s3, s11
	v_cmp_le_i32_e64 s3, s41, v77
	v_cmp_gt_i32_e64 s11, s28, v77
	s_and_b32 s5, s5, s6
	s_and_b32 s6, s17, s7
	s_delay_alu instid0(VALU_DEP_1) | instskip(SKIP_4) | instid1(VALU_DEP_1)
	s_and_b32 s7, s3, s11
	s_mov_b64 s[10:11], src_private_base
	v_add_nc_u32_e32 v36, s23, v18
	s_and_b32 s3, s4, vcc_lo
	s_and_b32 s4, s5, s7
	v_cmp_gt_i32_e64 s8, s39, v36
	s_waitcnt vmcnt(3)
	v_cndmask_b32_e64 v3, 0, v3, s3
	v_cndmask_b32_e64 v2, 0, v2, s3
	;; [unrolled: 1-line block ×4, first 2 shown]
	s_and_b32 s3, s8, vcc_lo
	s_waitcnt vmcnt(2)
	v_cndmask_b32_e64 v4, 0, v4, s3
	v_cndmask_b32_e64 v5, 0, v5, s3
	v_perm_b32 v0, v0, v0, 0x3020104
	v_perm_b32 v2, v2, v2, 0x3020104
	v_cndmask_b32_e64 v6, 0, v6, s3
	v_perm_b32 v4, v4, v4, 0x3020104
	v_cndmask_b32_e64 v7, 0, v7, s3
	s_and_b32 s3, s2, s6
	ds_store_2addr_stride64_b32 v34, v0, v1 offset0:64 offset1:66
	ds_store_2addr_stride64_b32 v34, v2, v3 offset0:68 offset1:70
	s_waitcnt vmcnt(1)
	v_cndmask_b32_e64 v1, 0, v11, s3
	ds_store_2addr_stride64_b32 v34, v4, v5 offset0:72 offset1:74
	v_cndmask_b32_e64 v2, 0, v10, s3
	v_cndmask_b32_e64 v3, 0, v9, s3
	;; [unrolled: 1-line block ×3, first 2 shown]
	s_and_b32 s3, s2, s4
	v_perm_b32 v0, v6, v6, 0x3020104
	s_waitcnt vmcnt(0)
	v_cndmask_b32_e64 v6, 0, v12, s3
	v_cndmask_b32_e64 v8, 0, v14, s3
	v_perm_b32 v4, v4, v4, 0x3020104
	v_perm_b32 v2, v2, v2, 0x3020104
	v_cndmask_b32_e64 v9, 0, v13, s3
	v_perm_b32 v6, v6, v6, 0x3020104
	v_cndmask_b32_e64 v5, 0, v15, s3
	v_perm_b32 v8, v8, v8, 0x3020104
	ds_store_2addr_stride64_b32 v34, v0, v7 offset0:76 offset1:78
	ds_store_2addr_stride64_b32 v34, v4, v3 offset1:2
	ds_store_2addr_stride64_b32 v34, v2, v1 offset0:4 offset1:6
	ds_store_2addr_stride64_b32 v34, v6, v9 offset0:8 offset1:10
	;; [unrolled: 1-line block ×3, first 2 shown]
	s_waitcnt lgkmcnt(0)
	s_waitcnt_vscnt null, 0x0
	s_barrier
	s_clause 0x2
	scratch_load_b32 v6, off, off offset:80
	scratch_load_b32 v7, off, off offset:112
	scratch_load_b64 v[4:5], off, off offset:416
	v_mul_hi_u32 v12, v74, s75
	v_mul_hi_u32 v13, v75, s75
	s_getpc_b64 s[18:19]
	s_add_u32 s18, s18, _ZNK2ck6detail15static_for_implINS_8SequenceIJLi1ELi2ELi3ELi4ELi5ELi6ELi7ELi8ELi9ELi10ELi11ELi12ELi13ELi14ELi15EEEEEclIZNKS_80BlockwiseGemmDl_A_BK0_BM_BK1_B_BK0_BN_BK1_C_BM0_BM1_BN0_BN1_pipeline_BM0_2_BN0_2ILi256EaaiKNS_16TensorDescriptorINS_5TupleIJNS_5EmbedINS8_IJNS_17integral_constantIiLi16EEENSA_IiLi128EEENSA_IiLi4EEEEEENS8_IJNSA_IiLi512EEESD_NSA_IiLi1EEEEEELb0EEEEEENS8_IJNS2_IJLi0EEEEEEENS8_IJNS2_IJLi1ELi2ELi3EEEEEEESM_NSA_IlLl8192EEEEESQ_Li4ELi4ELi1ENS2_IJLi8ELi2EEEESR_Li4ELi4ELb0EE3RunINS7_INS8_IJNS_7UnMergeINS8_IJNSA_IiLi2EEESD_SV_SD_EEELb0EEEEEESL_NS8_IJNS2_IJLi1ELi2ELi3ELi4EEEEEEESZ_NSA_IlLl64EEEEENS_13DynamicBufferILNS_16AddressSpaceEnumE2EaSO_Lb1ELNS_22AmdBufferCoherenceEnumE0EiEES16_NS_12StaticBufferILS14_4EiLi64ELb1EEEEEvRKT_RKT0_RKT1_RT2_EUlS19_E_EEvS19_@rel32@lo+4
	s_addc_u32 s19, s19, _ZNK2ck6detail15static_for_implINS_8SequenceIJLi1ELi2ELi3ELi4ELi5ELi6ELi7ELi8ELi9ELi10ELi11ELi12ELi13ELi14ELi15EEEEEclIZNKS_80BlockwiseGemmDl_A_BK0_BM_BK1_B_BK0_BN_BK1_C_BM0_BM1_BN0_BN1_pipeline_BM0_2_BN0_2ILi256EaaiKNS_16TensorDescriptorINS_5TupleIJNS_5EmbedINS8_IJNS_17integral_constantIiLi16EEENSA_IiLi128EEENSA_IiLi4EEEEEENS8_IJNSA_IiLi512EEESD_NSA_IiLi1EEEEEELb0EEEEEENS8_IJNS2_IJLi0EEEEEEENS8_IJNS2_IJLi1ELi2ELi3EEEEEEESM_NSA_IlLl8192EEEEESQ_Li4ELi4ELi1ENS2_IJLi8ELi2EEEESR_Li4ELi4ELb0EE3RunINS7_INS8_IJNS_7UnMergeINS8_IJNSA_IiLi2EEESD_SV_SD_EEELb0EEEEEESL_NS8_IJNS2_IJLi1ELi2ELi3ELi4EEEEEEESZ_NSA_IlLl64EEEEENS_13DynamicBufferILNS_16AddressSpaceEnumE2EaSO_Lb1ELNS_22AmdBufferCoherenceEnumE0EiEES16_NS_12StaticBufferILS14_4EiLi64ELb1EEEEEvRKT_RKT0_RKT1_RT2_EUlS19_E_EEvS19_@rel32@hi+12
	v_cmp_gt_i32_e64 s6, s48, v75
	s_delay_alu instid0(VALU_DEP_3) | instskip(NEXT) | instid1(VALU_DEP_3)
	v_add_nc_u32_e32 v12, v74, v12
	v_add_nc_u32_e32 v13, v75, v13
	s_delay_alu instid0(VALU_DEP_2) | instskip(NEXT) | instid1(VALU_DEP_2)
	v_lshrrev_b32_e32 v14, s73, v12
	v_lshrrev_b32_e32 v17, s73, v13
	s_delay_alu instid0(VALU_DEP_2) | instskip(NEXT) | instid1(VALU_DEP_2)
	v_mul_hi_u32 v12, v14, s74
	v_mul_hi_u32 v13, v17, s74
	s_delay_alu instid0(VALU_DEP_2) | instskip(NEXT) | instid1(VALU_DEP_2)
	v_add_nc_u32_e32 v12, v14, v12
	v_add_nc_u32_e32 v13, v17, v13
	s_delay_alu instid0(VALU_DEP_2) | instskip(SKIP_1) | instid1(VALU_DEP_3)
	v_lshrrev_b32_e32 v18, s72, v12
	v_mul_lo_u32 v12, v14, s71
	v_lshrrev_b32_e32 v19, s72, v13
	s_delay_alu instid0(VALU_DEP_3) | instskip(SKIP_1) | instid1(VALU_DEP_4)
	v_mul_lo_u32 v15, v18, s70
	v_sub_nc_u32_e32 v20, v18, v22
	v_sub_nc_u32_e32 v12, v74, v12
	s_delay_alu instid0(VALU_DEP_2) | instskip(SKIP_2) | instid1(VALU_DEP_2)
	v_mul_lo_u32 v78, v20, s66
	v_add_nc_u32_e32 v20, s14, v27
	v_sub_nc_u32_e32 v13, v14, v15
	v_add_nc_u32_e32 v24, s23, v20
	s_delay_alu instid0(VALU_DEP_2) | instskip(SKIP_1) | instid1(VALU_DEP_1)
	v_mad_u64_u32 v[14:15], null, v17, s71, v[12:13]
	v_sub_nc_u32_e32 v12, v12, v30
	v_mul_lo_u32 v12, v12, s31
	s_delay_alu instid0(VALU_DEP_3) | instskip(SKIP_3) | instid1(VALU_DEP_3)
	v_mad_u64_u32 v[15:16], null, v19, s70, v[13:14]
	v_sub_nc_u32_e32 v13, v13, v29
	v_sub_nc_u32_e32 v14, v75, v14
	;; [unrolled: 1-line block ×3, first 2 shown]
	v_mul_lo_u32 v79, v13, s68
	s_delay_alu instid0(VALU_DEP_3) | instskip(SKIP_1) | instid1(VALU_DEP_4)
	v_mul_lo_u32 v13, v14, s31
	v_sub_nc_u32_e32 v15, v17, v15
	v_mul_lo_u32 v80, v16, s66
	s_delay_alu instid0(VALU_DEP_2) | instskip(NEXT) | instid1(VALU_DEP_4)
	v_mul_lo_u32 v81, v15, s68
	v_mad_u64_u32 v[14:15], null, v78, s29, v[12:13]
	v_mul_lo_u32 v12, v79, s30
	s_delay_alu instid0(VALU_DEP_2) | instskip(NEXT) | instid1(VALU_DEP_4)
	v_mad_u64_u32 v[15:16], null, v80, s29, v[13:14]
	v_mul_lo_u32 v13, v81, s30
	s_delay_alu instid0(VALU_DEP_3) | instskip(NEXT) | instid1(VALU_DEP_1)
	v_add3_u32 v12, v14, v12, v31
	v_add3_u32 v16, v15, v13, v12
	s_waitcnt vmcnt(2)
	ds_load_b128 v[0:3], v6
	s_waitcnt vmcnt(1)
	v_ashrrev_i32_e32 v8, 31, v7
	s_waitcnt vmcnt(0)
	v_add_co_u32 v32, s3, v4, v7
	s_clause 0x1
	scratch_store_b128 off, v[38:41], off offset:32
	scratch_store_b128 off, v[38:41], off offset:48
	v_add_co_ci_u32_e64 v33, s3, v5, v8, s3
	ds_load_b128 v[4:7], v6 offset:256
	scratch_store_b128 off, v[38:41], off offset:16
	s_waitcnt lgkmcnt(1)
	scratch_store_b128 off, v[0:3], off
	flat_load_b128 v[8:11], v[32:33]
	s_clause 0x1
	buffer_load_b128 v[12:15], v12, s[24:27], 0 offen
	buffer_load_b128 v[16:19], v16, s[24:27], 0 offen
	s_clause 0x1
	buffer_load_b128 v[20:23], v20, s[44:47], 0 offen
	buffer_load_b128 v[24:27], v24, s[44:47], 0 offen
	s_clause 0x3
	scratch_load_b128 v[28:31], off, off offset:144
	scratch_load_b128 v[42:45], off, off offset:176
	;; [unrolled: 1-line block ×4, first 2 shown]
	s_waitcnt vmcnt(8) lgkmcnt(0)
	scratch_store_b128 off, v[8:11], off offset:32
	flat_load_b128 v[54:57], v[32:33] offset:256
	s_clause 0x3
	scratch_load_b128 v[58:61], off, off offset:160
	scratch_load_b128 v[62:65], off, off offset:192
	;; [unrolled: 1-line block ×4, first 2 shown]
	v_add_nc_u32_e32 v32, s14, v36
	s_clause 0x3
	s_load_b64 s[16:17], s[0:1], 0x1e8
	s_load_b32 s20, s[0:1], 0x1f4
	s_load_b32 s21, s[0:1], 0x200
	;; [unrolled: 1-line block ×3, first 2 shown]
	v_add_nc_u32_e32 v33, v76, v79
	v_add_nc_u32_e32 v36, v77, v78
	v_cmp_gt_i32_e64 s1, s48, v74
	v_cmp_gt_i32_e64 s0, s39, v32
	v_add_nc_u32_e32 v32, s23, v32
	v_cmp_le_i32_e64 s3, s64, v33
	v_cmp_gt_i32_e64 s4, s43, v33
	v_cmp_le_i32_e64 s7, s41, v36
	s_and_b32 s0, s0, vcc_lo
	v_cmp_gt_i32_e64 s5, s39, v32
	v_add_nc_u32_e32 v32, v36, v80
	s_and_b32 s23, s3, s4
	v_cmp_gt_i32_e64 s8, s28, v36
	s_and_b32 s1, s1, s23
	s_and_b32 vcc_lo, s5, vcc_lo
	s_waitcnt vmcnt(9)
	v_dual_cndmask_b32 v86, 0, v26 :: v_dual_add_nc_u32 v33, v33, v81
	v_cmp_le_i32_e64 s9, s41, v32
	v_cmp_gt_i32_e64 s10, s28, v32
	v_cndmask_b32_e32 v85, 0, v27, vcc_lo
	s_delay_alu instid0(VALU_DEP_4) | instskip(SKIP_4) | instid1(VALU_DEP_4)
	v_cmp_le_i32_e64 s3, s64, v33
	v_cmp_gt_i32_e64 s4, s43, v33
	v_dual_cndmask_b32 v87, 0, v25 :: v_dual_cndmask_b32 v88, 0, v24
	v_cndmask_b32_e64 v81, 0, v23, s0
	v_cndmask_b32_e64 v82, 0, v22, s0
	s_and_b32 s3, s3, s4
	s_and_b32 s4, s7, s8
	;; [unrolled: 1-line block ×7, first 2 shown]
	v_cndmask_b32_e64 v83, 0, v21, s0
	v_cndmask_b32_e64 v36, 0, v15, s1
	;; [unrolled: 1-line block ×5, first 2 shown]
	s_and_b32 s1, s2, s3
	s_waitcnt vmcnt(8)
	v_dot4_i32_iu8 v12, v0, v8, v28 neg_lo:[1,1,0]
	v_dot4_i32_iu8 v13, v0, v9, v29 neg_lo:[1,1,0]
	;; [unrolled: 1-line block ×4, first 2 shown]
	v_cndmask_b32_e64 v77, 0, v19, s1
	v_cndmask_b32_e64 v78, 0, v18, s1
	;; [unrolled: 1-line block ×4, first 2 shown]
	s_waitcnt vmcnt(7)
	v_dot4_i32_iu8 v16, v1, v8, v42 neg_lo:[1,1,0]
	v_dot4_i32_iu8 v17, v1, v9, v43 neg_lo:[1,1,0]
	;; [unrolled: 1-line block ×4, first 2 shown]
	v_cndmask_b32_e64 v84, 0, v20, s0
	s_waitcnt vmcnt(6)
	v_dot4_i32_iu8 v20, v2, v8, v46 neg_lo:[1,1,0]
	v_dot4_i32_iu8 v21, v2, v9, v47 neg_lo:[1,1,0]
	;; [unrolled: 1-line block ×4, first 2 shown]
	s_waitcnt vmcnt(5)
	v_dot4_i32_iu8 v8, v3, v8, v50 neg_lo:[1,1,0]
	v_dot4_i32_iu8 v9, v3, v9, v51 neg_lo:[1,1,0]
	;; [unrolled: 1-line block ×4, first 2 shown]
	scratch_store_b128 off, v[4:7], off offset:16
	s_waitcnt vmcnt(4) lgkmcnt(0)
	scratch_store_b128 off, v[54:57], off offset:48
	s_waitcnt vmcnt(3)
	v_dot4_i32_iu8 v4, v0, v54, v58 neg_lo:[1,1,0]
	v_dot4_i32_iu8 v5, v0, v55, v59 neg_lo:[1,1,0]
	v_dot4_i32_iu8 v6, v0, v56, v60 neg_lo:[1,1,0]
	v_dot4_i32_iu8 v7, v0, v57, v61 neg_lo:[1,1,0]
	s_waitcnt vmcnt(2)
	v_dot4_i32_iu8 v24, v1, v54, v62 neg_lo:[1,1,0]
	v_dot4_i32_iu8 v25, v1, v55, v63 neg_lo:[1,1,0]
	v_dot4_i32_iu8 v26, v1, v56, v64 neg_lo:[1,1,0]
	v_dot4_i32_iu8 v27, v1, v57, v65 neg_lo:[1,1,0]
	;; [unrolled: 5-line block ×4, first 2 shown]
	s_clause 0x7
	scratch_store_b128 off, v[12:15], off offset:144
	scratch_store_b128 off, v[4:7], off offset:160
	;; [unrolled: 1-line block ×8, first 2 shown]
	v_mov_b32_e32 v0, 64
	v_mov_b32_e32 v2, 0x190
	;; [unrolled: 1-line block ×5, first 2 shown]
	v_dual_mov_b32 v10, 0x1a0 :: v_dual_mov_b32 v1, s11
	v_mov_b32_e32 v3, s11
	v_mov_b32_e32 v5, s11
	;; [unrolled: 1-line block ×5, first 2 shown]
	s_swappc_b64 s[30:31], s[18:19]
	s_clause 0xe
	scratch_load_b32 v54, off, off offset:16
	scratch_load_b32 v55, off, off offset:32
	scratch_load_b128 v[0:3], off, off offset:272
	scratch_load_b128 v[4:7], off, off offset:32
	;; [unrolled: 1-line block ×6, first 2 shown]
	scratch_load_b32 v8, off, off offset:48
	scratch_load_b128 v[24:27], off, off offset:288
	scratch_load_b128 v[28:31], off, off offset:48
	;; [unrolled: 1-line block ×5, first 2 shown]
	scratch_load_b64 v[32:33], off, off offset:432
	v_perm_b32 v56, v76, v76, 0x3020104
	v_perm_b32 v57, v74, v74, 0x3020104
	;; [unrolled: 1-line block ×4, first 2 shown]
	s_waitcnt vmcnt(12)
	v_dot4_i32_iu8 v0, v54, v55, v0 neg_lo:[1,1,0]
	s_waitcnt vmcnt(11)
	v_dot4_i32_iu8 v1, v54, v5, v1 neg_lo:[1,1,0]
	v_dot4_i32_iu8 v2, v54, v6, v2 neg_lo:[1,1,0]
	v_dot4_i32_iu8 v3, v54, v7, v3 neg_lo:[1,1,0]
	s_waitcnt vmcnt(9)
	v_dot4_i32_iu8 v13, v9, v5, v13 neg_lo:[1,1,0]
	v_dot4_i32_iu8 v14, v9, v6, v14 neg_lo:[1,1,0]
	;; [unrolled: 4-line block ×4, first 2 shown]
	v_dot4_i32_iu8 v6, v11, v6, v22 neg_lo:[1,1,0]
	v_dot4_i32_iu8 v7, v11, v7, v23 neg_lo:[1,1,0]
	s_waitcnt vmcnt(5)
	v_dot4_i32_iu8 v20, v54, v8, v24 neg_lo:[1,1,0]
	s_waitcnt vmcnt(4)
	v_dot4_i32_iu8 v21, v54, v29, v25 neg_lo:[1,1,0]
	v_dot4_i32_iu8 v22, v54, v30, v26 neg_lo:[1,1,0]
	;; [unrolled: 1-line block ×4, first 2 shown]
	s_waitcnt vmcnt(3)
	v_dot4_i32_iu8 v24, v9, v8, v42 neg_lo:[1,1,0]
	v_dot4_i32_iu8 v25, v9, v29, v43 neg_lo:[1,1,0]
	;; [unrolled: 1-line block ×4, first 2 shown]
	s_waitcnt vmcnt(0)
	v_add_co_u32 v28, vcc_lo, v32, v34
	v_dot4_i32_iu8 v16, v10, v55, v16 neg_lo:[1,1,0]
	v_dot4_i32_iu8 v42, v10, v8, v46 neg_lo:[1,1,0]
	;; [unrolled: 1-line block ×9, first 2 shown]
	v_add_co_ci_u32_e32 v29, vcc_lo, 0, v33, vcc_lo
	s_clause 0x7
	scratch_store_b128 off, v[0:3], off offset:272
	scratch_store_b128 off, v[20:23], off offset:288
	;; [unrolled: 1-line block ×8, first 2 shown]
	s_clause 0x7
	flat_store_b32 v[28:29], v56
	flat_store_b32 v[28:29], v75 offset:512
	flat_store_b32 v[28:29], v57 offset:1024
	;; [unrolled: 1-line block ×7, first 2 shown]
	scratch_load_b64 v[4:5], off, off offset:448
	v_perm_b32 v2, v84, v84, 0x3020104
	v_perm_b32 v3, v82, v82, 0x3020104
	;; [unrolled: 1-line block ×4, first 2 shown]
	s_waitcnt vmcnt(0)
	v_add_co_u32 v0, vcc_lo, v4, v34
	v_add_co_ci_u32_e32 v1, vcc_lo, 0, v5, vcc_lo
	s_clause 0x7
	flat_store_b32 v[0:1], v2
	flat_store_b32 v[0:1], v83 offset:512
	flat_store_b32 v[0:1], v3 offset:1024
	;; [unrolled: 1-line block ×7, first 2 shown]
	s_waitcnt lgkmcnt(0)
	s_waitcnt_vscnt null, 0x0
	s_barrier
	s_clause 0x1
	scratch_load_b32 v0, off, off offset:80
	scratch_load_b32 v6, off, off offset:112
	s_clause 0x3
	scratch_store_b128 off, v[38:41], off
	scratch_store_b128 off, v[38:41], off offset:16
	scratch_store_b128 off, v[38:41], off offset:32
	;; [unrolled: 1-line block ×3, first 2 shown]
	s_waitcnt vmcnt(1)
	v_ashrrev_i32_e32 v1, 31, v0
	v_add_co_u32 v32, vcc_lo, v32, v0
	s_waitcnt vmcnt(0)
	v_ashrrev_i32_e32 v7, 31, v6
	s_delay_alu instid0(VALU_DEP_3) | instskip(SKIP_1) | instid1(VALU_DEP_3)
	v_add_co_ci_u32_e32 v33, vcc_lo, v33, v1, vcc_lo
	v_add_co_u32 v8, vcc_lo, v4, v6
	v_add_co_ci_u32_e32 v9, vcc_lo, v5, v7, vcc_lo
	flat_load_b128 v[0:3], v[32:33]
	s_waitcnt vmcnt(0) lgkmcnt(0)
	scratch_store_b128 off, v[0:3], off
	flat_load_b128 v[4:7], v[8:9]
	s_waitcnt vmcnt(0) lgkmcnt(0)
	scratch_store_b128 off, v[4:7], off offset:32
	flat_load_b128 v[8:11], v[8:9] offset:256
	s_clause 0x7
	scratch_load_b128 v[12:15], off, off offset:144
	scratch_load_b128 v[16:19], off, off offset:176
	;; [unrolled: 1-line block ×8, first 2 shown]
	s_waitcnt vmcnt(8) lgkmcnt(0)
	scratch_store_b128 off, v[8:11], off offset:48
	flat_load_b128 v[50:53], v[32:33] offset:256
	s_waitcnt vmcnt(8)
	v_dot4_i32_iu8 v12, v0, v4, v12 neg_lo:[1,1,0]
	v_dot4_i32_iu8 v13, v0, v5, v13 neg_lo:[1,1,0]
	v_dot4_i32_iu8 v14, v0, v6, v14 neg_lo:[1,1,0]
	v_dot4_i32_iu8 v15, v0, v7, v15 neg_lo:[1,1,0]
	s_waitcnt vmcnt(7)
	v_dot4_i32_iu8 v16, v1, v4, v16 neg_lo:[1,1,0]
	v_dot4_i32_iu8 v17, v1, v5, v17 neg_lo:[1,1,0]
	v_dot4_i32_iu8 v18, v1, v6, v18 neg_lo:[1,1,0]
	v_dot4_i32_iu8 v19, v1, v7, v19 neg_lo:[1,1,0]
	;; [unrolled: 5-line block ×8, first 2 shown]
	v_dual_mov_b32 v8, 0x90 :: v_dual_mov_b32 v9, s11
	v_dual_mov_b32 v10, 0x1c0 :: v_dual_mov_b32 v11, s11
	s_clause 0x7
	scratch_store_b128 off, v[12:15], off offset:144
	scratch_store_b128 off, v[24:27], off offset:160
	;; [unrolled: 1-line block ×8, first 2 shown]
	s_waitcnt vmcnt(0) lgkmcnt(0)
	scratch_store_b128 off, v[50:53], off offset:16
	v_dual_mov_b32 v0, 64 :: v_dual_mov_b32 v1, s11
	v_dual_mov_b32 v2, 0x1b0 :: v_dual_mov_b32 v3, s11
	;; [unrolled: 1-line block ×4, first 2 shown]
	s_swappc_b64 s[30:31], s[18:19]
	s_clause 0xd
	scratch_load_b32 v36, off, off offset:16
	scratch_load_b32 v62, off, off offset:32
	scratch_load_b128 v[0:3], off, off offset:272
	scratch_load_b128 v[4:7], off, off offset:32
	;; [unrolled: 1-line block ×6, first 2 shown]
	scratch_load_b32 v38, off, off offset:48
	scratch_load_b128 v[28:31], off, off offset:288
	scratch_load_b128 v[42:45], off, off offset:48
	;; [unrolled: 1-line block ×5, first 2 shown]
	v_add_nc_u32_e32 v53, s22, v35
	v_add_nc_u32_e32 v52, s15, v37
	s_mov_b32 s39, s27
	s_lshl_b32 s3, s35, 6
	s_lshl_b32 s18, s17, 6
	s_waitcnt vmcnt(10)
	v_mul_lo_u32 v4, v53, s34
	v_cmp_gt_i32_e64 s0, s80, v52
	v_cmp_gt_i32_e64 s1, s33, v53
	s_add_i32 s2, s3, s34
	s_add_i32 s22, s17, s16
	s_mov_b32 s15, s27
	s_lshl_b32 s19, s16, 6
	s_and_b32 vcc_lo, s1, s0
	v_dot4_i32_iu8 v32, v36, v62, v0 neg_lo:[1,1,0]
	v_mad_u64_u32 v[50:51], null, v52, s35, v[4:5]
	v_dot4_i32_iu8 v33, v36, v5, v1 neg_lo:[1,1,0]
	v_dot4_i32_iu8 v34, v36, v6, v2 neg_lo:[1,1,0]
	;; [unrolled: 1-line block ×3, first 2 shown]
	s_waitcnt vmcnt(4)
	v_dot4_i32_iu8 v28, v36, v38, v28 neg_lo:[1,1,0]
	s_waitcnt vmcnt(3)
	v_dot4_i32_iu8 v29, v36, v43, v29 neg_lo:[1,1,0]
	v_dot4_i32_iu8 v30, v36, v44, v30 neg_lo:[1,1,0]
	;; [unrolled: 1-line block ×11, first 2 shown]
	s_waitcnt vmcnt(2)
	v_dot4_i32_iu8 v20, v39, v38, v46 neg_lo:[1,1,0]
	v_dot4_i32_iu8 v21, v39, v43, v47 neg_lo:[1,1,0]
	;; [unrolled: 1-line block ×8, first 2 shown]
	s_waitcnt vmcnt(1)
	v_dot4_i32_iu8 v12, v40, v38, v54 neg_lo:[1,1,0]
	v_dot4_i32_iu8 v13, v40, v43, v55 neg_lo:[1,1,0]
	;; [unrolled: 1-line block ×4, first 2 shown]
	s_waitcnt vmcnt(0)
	v_dot4_i32_iu8 v4, v41, v38, v58 neg_lo:[1,1,0]
	v_dot4_i32_iu8 v5, v41, v43, v59 neg_lo:[1,1,0]
	;; [unrolled: 1-line block ×4, first 2 shown]
	s_clause 0x7
	scratch_store_b128 off, v[32:35], off offset:272
	scratch_store_b128 off, v[28:31], off offset:288
	;; [unrolled: 1-line block ×8, first 2 shown]
	buffer_load_b32 v36, v50, s[36:39], 0 offen
	scratch_load_b128 v[0:3], off, off offset:144
	s_waitcnt vmcnt(1)
	v_cndmask_b32_e32 v40, 0, v36, vcc_lo
	scratch_load_b128 v[36:39], off, off offset:160
	v_or_b32_e32 v55, 1, v53
	v_or_b32_e32 v68, 2, v53
	;; [unrolled: 1-line block ×3, first 2 shown]
	v_lshrrev_b32_e32 v41, 8, v40
	v_lshrrev_b32_e32 v42, 16, v40
	;; [unrolled: 1-line block ×3, first 2 shown]
	s_waitcnt vmcnt(1)
	v_add_nc_u16 v0, v40, v0
	v_add_nc_u32_e32 v40, s3, v50
	v_add_nc_u16 v1, v41, v1
	v_add_nc_u16 v2, v42, v2
	;; [unrolled: 1-line block ×3, first 2 shown]
	v_bfe_i32 v0, v0, 0, 8
	s_delay_alu instid0(VALU_DEP_4) | instskip(NEXT) | instid1(VALU_DEP_4)
	v_bfe_i32 v1, v1, 0, 8
	v_bfe_i32 v2, v2, 0, 8
	s_delay_alu instid0(VALU_DEP_4) | instskip(NEXT) | instid1(VALU_DEP_4)
	v_bfe_i32 v3, v3, 0, 8
	v_max_i16 v0, v0, 0
	s_delay_alu instid0(VALU_DEP_4) | instskip(NEXT) | instid1(VALU_DEP_4)
	v_max_i16 v1, v1, 0
	v_max_i16 v54, v2, 0
	s_delay_alu instid0(VALU_DEP_4) | instskip(NEXT) | instid1(VALU_DEP_4)
	v_max_i16 v3, v3, 0
	v_and_b32_e32 v0, 0xffff, v0
	s_delay_alu instid0(VALU_DEP_4) | instskip(NEXT) | instid1(VALU_DEP_4)
	v_and_b32_e32 v1, 0xffff, v1
	v_and_b32_e32 v2, 0xffff, v54
	s_delay_alu instid0(VALU_DEP_4) | instskip(SKIP_4) | instid1(VALU_DEP_2)
	v_and_b32_e32 v3, 0xffff, v3
	scratch_store_b128 off, v[0:3], off offset:144
	buffer_load_b32 v41, v40, s[36:39], 0 offen
	v_add_nc_u32_e32 v2, 64, v52
	v_lshlrev_b32_e32 v3, 24, v3
	v_cmp_gt_i32_e32 vcc_lo, s80, v2
	s_and_b32 s1, s1, vcc_lo
	s_waitcnt vmcnt(0)
	v_cndmask_b32_e64 v41, 0, v41, s1
	s_lshl_b32 s1, s35, 7
	s_delay_alu instid0(SALU_CYCLE_1) | instskip(SKIP_1) | instid1(VALU_DEP_2)
	s_sub_i32 s4, s2, s1
	v_cmp_gt_i32_e64 s1, s33, v55
	v_lshrrev_b32_e32 v42, 8, v41
	v_lshrrev_b32_e32 v43, 16, v41
	;; [unrolled: 1-line block ×3, first 2 shown]
	v_add_nc_u16 v36, v41, v36
	s_and_b32 s2, s1, s0
	v_add_nc_u16 v37, v42, v37
	v_add_nc_u16 v38, v43, v38
	;; [unrolled: 1-line block ×3, first 2 shown]
	v_bfe_i32 v36, v36, 0, 8
	v_add_nc_u32_e32 v44, s4, v40
	v_bfe_i32 v37, v37, 0, 8
	v_bfe_i32 v38, v38, 0, 8
	;; [unrolled: 1-line block ×3, first 2 shown]
	v_max_i16 v36, v36, 0
	scratch_load_b128 v[40:43], off, off offset:176
	v_max_i16 v37, v37, 0
	v_max_i16 v38, v38, 0
	v_max_i16 v39, v39, 0
	v_and_b32_e32 v36, 0xffff, v36
	s_and_b32 s1, s1, vcc_lo
	v_and_b32_e32 v37, 0xffff, v37
	v_and_b32_e32 v38, 0xffff, v38
	;; [unrolled: 1-line block ×3, first 2 shown]
	scratch_store_b128 off, v[36:39], off offset:160
	buffer_load_b32 v36, v44, s[36:39], 0 offen
	s_waitcnt vmcnt(0)
	v_cndmask_b32_e64 v45, 0, v36, s2
	scratch_load_b128 v[36:39], off, off offset:160
	v_lshrrev_b32_e32 v46, 8, v45
	v_lshrrev_b32_e32 v47, 16, v45
	;; [unrolled: 1-line block ×3, first 2 shown]
	v_add_nc_u16 v40, v45, v40
	s_delay_alu instid0(VALU_DEP_4) | instskip(NEXT) | instid1(VALU_DEP_4)
	v_add_nc_u16 v41, v46, v41
	v_add_nc_u16 v42, v47, v42
	s_delay_alu instid0(VALU_DEP_4) | instskip(NEXT) | instid1(VALU_DEP_4)
	v_add_nc_u16 v43, v48, v43
	v_bfe_i32 v40, v40, 0, 8
	v_add_nc_u32_e32 v48, s3, v44
	v_bfe_i32 v41, v41, 0, 8
	v_bfe_i32 v42, v42, 0, 8
	;; [unrolled: 1-line block ×3, first 2 shown]
	v_max_i16 v40, v40, 0
	scratch_load_b128 v[44:47], off, off offset:192
	v_max_i16 v41, v41, 0
	v_max_i16 v42, v42, 0
	;; [unrolled: 1-line block ×3, first 2 shown]
	v_and_b32_e32 v40, 0xffff, v40
	s_delay_alu instid0(VALU_DEP_4) | instskip(NEXT) | instid1(VALU_DEP_4)
	v_and_b32_e32 v41, 0xffff, v41
	v_and_b32_e32 v42, 0xffff, v42
	s_delay_alu instid0(VALU_DEP_4)
	v_and_b32_e32 v43, 0xffff, v43
	scratch_store_b128 off, v[40:43], off offset:176
	buffer_load_b32 v40, v48, s[36:39], 0 offen
	s_waitcnt vmcnt(2)
	v_lshlrev_b32_e32 v37, 8, v37
	v_lshlrev_b32_e32 v38, 16, v38
	;; [unrolled: 1-line block ×3, first 2 shown]
	s_delay_alu instid0(VALU_DEP_3) | instskip(NEXT) | instid1(VALU_DEP_3)
	v_perm_b32 v36, v37, v36, 0xc0c0500
	v_and_b32_e32 v37, 0xff0000, v38
	s_waitcnt vmcnt(0)
	v_cndmask_b32_e64 v49, 0, v40, s1
	scratch_load_b128 v[40:43], off, off offset:176
	v_cmp_gt_i32_e64 s1, s33, v68
	v_lshrrev_b32_e32 v50, 8, v49
	v_lshrrev_b32_e32 v51, 16, v49
	v_lshrrev_b32_e32 v56, 24, v49
	v_add_nc_u16 v44, v49, v44
	s_and_b32 s2, s1, s0
	v_add_nc_u16 v45, v50, v45
	v_add_nc_u16 v46, v51, v46
	;; [unrolled: 1-line block ×3, first 2 shown]
	v_bfe_i32 v44, v44, 0, 8
	v_add_nc_u32_e32 v56, s4, v48
	v_bfe_i32 v45, v45, 0, 8
	v_bfe_i32 v46, v46, 0, 8
	;; [unrolled: 1-line block ×3, first 2 shown]
	v_max_i16 v44, v44, 0
	scratch_load_b128 v[48:51], off, off offset:208
	v_max_i16 v45, v45, 0
	v_max_i16 v46, v46, 0
	;; [unrolled: 1-line block ×3, first 2 shown]
	v_and_b32_e32 v44, 0xffff, v44
	s_and_b32 s1, s1, vcc_lo
	v_and_b32_e32 v45, 0xffff, v45
	v_and_b32_e32 v46, 0xffff, v46
	;; [unrolled: 1-line block ×3, first 2 shown]
	scratch_store_b128 off, v[44:47], off offset:192
	buffer_load_b32 v44, v56, s[36:39], 0 offen
	s_waitcnt vmcnt(2)
	v_lshlrev_b32_e32 v41, 8, v41
	v_lshlrev_b32_e32 v42, 16, v42
	s_waitcnt vmcnt(0)
	v_cndmask_b32_e64 v57, 0, v44, s2
	scratch_load_b128 v[44:47], off, off offset:192
	v_lshrrev_b32_e32 v58, 8, v57
	v_lshrrev_b32_e32 v59, 16, v57
	;; [unrolled: 1-line block ×3, first 2 shown]
	v_add_nc_u16 v48, v57, v48
	s_delay_alu instid0(VALU_DEP_4) | instskip(NEXT) | instid1(VALU_DEP_4)
	v_add_nc_u16 v49, v58, v49
	v_add_nc_u16 v50, v59, v50
	s_delay_alu instid0(VALU_DEP_4) | instskip(NEXT) | instid1(VALU_DEP_4)
	v_add_nc_u16 v51, v60, v51
	v_bfe_i32 v48, v48, 0, 8
	v_add_nc_u32_e32 v60, s3, v56
	v_bfe_i32 v49, v49, 0, 8
	v_bfe_i32 v50, v50, 0, 8
	;; [unrolled: 1-line block ×3, first 2 shown]
	v_max_i16 v48, v48, 0
	scratch_load_b128 v[56:59], off, off offset:224
	v_max_i16 v49, v49, 0
	v_max_i16 v50, v50, 0
	;; [unrolled: 1-line block ×3, first 2 shown]
	v_and_b32_e32 v48, 0xffff, v48
	s_delay_alu instid0(VALU_DEP_4) | instskip(NEXT) | instid1(VALU_DEP_4)
	v_and_b32_e32 v49, 0xffff, v49
	v_and_b32_e32 v50, 0xffff, v50
	s_delay_alu instid0(VALU_DEP_4)
	v_and_b32_e32 v51, 0xffff, v51
	scratch_store_b128 off, v[48:51], off offset:208
	buffer_load_b32 v48, v60, s[36:39], 0 offen
	s_waitcnt vmcnt(0)
	v_cndmask_b32_e64 v61, 0, v48, s1
	scratch_load_b128 v[48:51], off, off offset:208
	v_cmp_gt_i32_e64 s1, s33, v69
	v_lshrrev_b32_e32 v62, 8, v61
	v_lshrrev_b32_e32 v63, 16, v61
	;; [unrolled: 1-line block ×3, first 2 shown]
	v_add_nc_u16 v56, v61, v56
	s_and_b32 s2, s1, s0
	v_add_nc_u16 v57, v62, v57
	v_add_nc_u16 v58, v63, v58
	;; [unrolled: 1-line block ×3, first 2 shown]
	v_bfe_i32 v56, v56, 0, 8
	v_add_nc_u32_e32 v64, s4, v60
	v_bfe_i32 v57, v57, 0, 8
	v_bfe_i32 v58, v58, 0, 8
	;; [unrolled: 1-line block ×3, first 2 shown]
	v_max_i16 v56, v56, 0
	s_and_b32 s1, s1, vcc_lo
	v_max_i16 v57, v57, 0
	v_max_i16 v58, v58, 0
	;; [unrolled: 1-line block ×3, first 2 shown]
	v_and_b32_e32 v56, 0xffff, v56
	s_delay_alu instid0(VALU_DEP_4) | instskip(NEXT) | instid1(VALU_DEP_4)
	v_and_b32_e32 v57, 0xffff, v57
	v_and_b32_e32 v58, 0xffff, v58
	s_delay_alu instid0(VALU_DEP_4)
	v_and_b32_e32 v59, 0xffff, v59
	scratch_store_b128 off, v[56:59], off offset:224
	buffer_load_b32 v60, v64, s[36:39], 0 offen
	scratch_load_b128 v[56:59], off, off offset:240
	s_waitcnt vmcnt(1)
	v_cndmask_b32_e64 v65, 0, v60, s2
	scratch_load_b128 v[60:63], off, off offset:224
	v_lshrrev_b32_e32 v66, 8, v65
	v_lshrrev_b32_e32 v67, 16, v65
	;; [unrolled: 1-line block ×3, first 2 shown]
	s_waitcnt vmcnt(1)
	v_add_nc_u16 v56, v65, v56
	v_add_nc_u16 v57, v66, v57
	;; [unrolled: 1-line block ×4, first 2 shown]
	s_delay_alu instid0(VALU_DEP_4)
	v_bfe_i32 v56, v56, 0, 8
	v_add_nc_u32_e32 v70, s3, v64
	v_bfe_i32 v57, v57, 0, 8
	v_bfe_i32 v58, v58, 0, 8
	;; [unrolled: 1-line block ×3, first 2 shown]
	v_max_i16 v56, v56, 0
	s_delay_alu instid0(VALU_DEP_4) | instskip(NEXT) | instid1(VALU_DEP_4)
	v_max_i16 v57, v57, 0
	v_max_i16 v58, v58, 0
	s_delay_alu instid0(VALU_DEP_4) | instskip(NEXT) | instid1(VALU_DEP_4)
	v_max_i16 v59, v59, 0
	v_and_b32_e32 v56, 0xffff, v56
	s_delay_alu instid0(VALU_DEP_4) | instskip(NEXT) | instid1(VALU_DEP_4)
	v_and_b32_e32 v57, 0xffff, v57
	v_and_b32_e32 v58, 0xffff, v58
	s_delay_alu instid0(VALU_DEP_4)
	v_and_b32_e32 v59, 0xffff, v59
	scratch_store_b128 off, v[56:59], off offset:240
	buffer_load_b32 v64, v70, s[36:39], 0 offen
	scratch_load_b128 v[56:59], off, off offset:256
	s_waitcnt vmcnt(1)
	v_cndmask_b32_e64 v71, 0, v64, s1
	scratch_load_b128 v[64:67], off, off offset:240
	s_mul_i32 s1, s34, 60
	s_delay_alu instid0(SALU_CYCLE_1)
	v_add3_u32 v70, s4, s1, v70
	v_lshrrev_b32_e32 v72, 8, v71
	v_lshrrev_b32_e32 v73, 16, v71
	;; [unrolled: 1-line block ×3, first 2 shown]
	s_waitcnt vmcnt(1)
	v_add_nc_u16 v56, v71, v56
	v_add_nc_u32_e32 v71, 64, v53
	v_add_nc_u16 v57, v72, v57
	v_add_nc_u16 v58, v73, v58
	;; [unrolled: 1-line block ×3, first 2 shown]
	v_bfe_i32 v56, v56, 0, 8
	v_cmp_gt_i32_e64 s1, s33, v71
	v_bfe_i32 v57, v57, 0, 8
	v_bfe_i32 v58, v58, 0, 8
	;; [unrolled: 1-line block ×3, first 2 shown]
	v_max_i16 v56, v56, 0
	s_and_b32 s2, s1, s0
	v_max_i16 v57, v57, 0
	v_max_i16 v58, v58, 0
	;; [unrolled: 1-line block ×3, first 2 shown]
	v_and_b32_e32 v56, 0xffff, v56
	s_and_b32 s1, s1, vcc_lo
	v_and_b32_e32 v57, 0xffff, v57
	v_and_b32_e32 v58, 0xffff, v58
	;; [unrolled: 1-line block ×3, first 2 shown]
	v_add_nc_u32_e32 v72, 0x42, v53
	v_add_nc_u32_e32 v73, 0x43, v53
	v_cmp_gt_i32_e64 s11, s20, v71
	scratch_store_b128 off, v[56:59], off offset:256
	buffer_load_b32 v56, v70, s[36:39], 0 offen
	v_cmp_gt_i32_e64 s7, s20, v72
	v_cmp_ge_i32_e64 s8, s20, v72
	v_cmp_gt_i32_e64 s5, s20, v73
	v_cmp_ge_i32_e64 s6, s20, v73
	s_waitcnt vmcnt(0)
	v_cndmask_b32_e64 v56, 0, v56, s2
	s_delay_alu instid0(VALU_DEP_1)
	v_lshrrev_b32_e32 v57, 8, v56
	v_lshrrev_b32_e32 v58, 16, v56
	;; [unrolled: 1-line block ×3, first 2 shown]
	v_add_nc_u16 v32, v56, v32
	v_add_nc_u32_e32 v56, s3, v70
	v_add_nc_u16 v33, v57, v33
	v_add_nc_u16 v34, v58, v34
	;; [unrolled: 1-line block ×3, first 2 shown]
	v_bfe_i32 v32, v32, 0, 8
	v_add_nc_u32_e32 v70, 0x41, v53
	v_bfe_i32 v33, v33, 0, 8
	v_bfe_i32 v34, v34, 0, 8
	;; [unrolled: 1-line block ×3, first 2 shown]
	v_max_i16 v32, v32, 0
	v_cmp_gt_i32_e64 s9, s20, v70
	v_max_i16 v33, v33, 0
	v_max_i16 v34, v34, 0
	;; [unrolled: 1-line block ×3, first 2 shown]
	v_and_b32_e32 v32, 0xffff, v32
	v_cmp_ge_i32_e64 s10, s20, v70
	v_and_b32_e32 v33, 0xffff, v33
	v_and_b32_e32 v34, 0xffff, v34
	;; [unrolled: 1-line block ×3, first 2 shown]
	scratch_store_b128 off, v[32:35], off offset:272
	buffer_load_b32 v32, v56, s[36:39], 0 offen
	s_waitcnt vmcnt(0)
	v_cndmask_b32_e64 v32, 0, v32, s1
	v_cmp_gt_i32_e64 s1, s33, v70
	s_delay_alu instid0(VALU_DEP_2)
	v_lshrrev_b32_e32 v33, 8, v32
	v_lshrrev_b32_e32 v34, 16, v32
	;; [unrolled: 1-line block ×3, first 2 shown]
	v_add_nc_u16 v28, v32, v28
	v_add_nc_u32_e32 v32, s4, v56
	v_add_nc_u16 v29, v33, v29
	v_add_nc_u16 v30, v34, v30
	;; [unrolled: 1-line block ×3, first 2 shown]
	v_bfe_i32 v28, v28, 0, 8
	s_and_b32 s2, s1, s0
	v_bfe_i32 v29, v29, 0, 8
	v_bfe_i32 v30, v30, 0, 8
	;; [unrolled: 1-line block ×3, first 2 shown]
	v_max_i16 v28, v28, 0
	s_and_b32 s1, s1, vcc_lo
	v_max_i16 v29, v29, 0
	v_max_i16 v30, v30, 0
	;; [unrolled: 1-line block ×3, first 2 shown]
	v_and_b32_e32 v28, 0xffff, v28
	s_delay_alu instid0(VALU_DEP_4) | instskip(NEXT) | instid1(VALU_DEP_4)
	v_and_b32_e32 v29, 0xffff, v29
	v_and_b32_e32 v30, 0xffff, v30
	s_delay_alu instid0(VALU_DEP_4) | instskip(SKIP_4) | instid1(VALU_DEP_1)
	v_and_b32_e32 v31, 0xffff, v31
	scratch_store_b128 off, v[28:31], off offset:288
	buffer_load_b32 v28, v32, s[36:39], 0 offen
	s_waitcnt vmcnt(0)
	v_cndmask_b32_e64 v28, 0, v28, s2
	v_lshrrev_b32_e32 v29, 8, v28
	v_lshrrev_b32_e32 v30, 16, v28
	;; [unrolled: 1-line block ×3, first 2 shown]
	v_add_nc_u16 v24, v28, v24
	v_add_nc_u32_e32 v28, s3, v32
	v_add_nc_u16 v25, v29, v25
	v_add_nc_u16 v26, v30, v26
	;; [unrolled: 1-line block ×3, first 2 shown]
	v_bfe_i32 v24, v24, 0, 8
	s_delay_alu instid0(VALU_DEP_4) | instskip(NEXT) | instid1(VALU_DEP_4)
	v_bfe_i32 v25, v25, 0, 8
	v_bfe_i32 v26, v26, 0, 8
	s_delay_alu instid0(VALU_DEP_4) | instskip(NEXT) | instid1(VALU_DEP_4)
	v_bfe_i32 v27, v27, 0, 8
	v_max_i16 v24, v24, 0
	s_delay_alu instid0(VALU_DEP_4) | instskip(NEXT) | instid1(VALU_DEP_4)
	v_max_i16 v25, v25, 0
	v_max_i16 v26, v26, 0
	s_delay_alu instid0(VALU_DEP_4) | instskip(NEXT) | instid1(VALU_DEP_4)
	v_max_i16 v27, v27, 0
	v_and_b32_e32 v24, 0xffff, v24
	s_delay_alu instid0(VALU_DEP_4) | instskip(NEXT) | instid1(VALU_DEP_4)
	v_and_b32_e32 v25, 0xffff, v25
	v_and_b32_e32 v26, 0xffff, v26
	s_delay_alu instid0(VALU_DEP_4)
	v_and_b32_e32 v27, 0xffff, v27
	scratch_store_b128 off, v[24:27], off offset:304
	buffer_load_b32 v24, v28, s[36:39], 0 offen
	s_waitcnt vmcnt(0)
	v_cndmask_b32_e64 v24, 0, v24, s1
	v_cmp_gt_i32_e64 s1, s33, v72
	s_delay_alu instid0(VALU_DEP_2)
	v_lshrrev_b32_e32 v25, 8, v24
	v_lshrrev_b32_e32 v26, 16, v24
	;; [unrolled: 1-line block ×3, first 2 shown]
	v_add_nc_u16 v20, v24, v20
	v_add_nc_u32_e32 v24, s4, v28
	v_add_nc_u16 v21, v25, v21
	v_add_nc_u16 v22, v26, v22
	;; [unrolled: 1-line block ×3, first 2 shown]
	v_bfe_i32 v20, v20, 0, 8
	s_and_b32 s2, s1, s0
	v_bfe_i32 v21, v21, 0, 8
	v_bfe_i32 v22, v22, 0, 8
	;; [unrolled: 1-line block ×3, first 2 shown]
	v_max_i16 v20, v20, 0
	s_and_b32 s1, s1, vcc_lo
	v_max_i16 v21, v21, 0
	v_max_i16 v22, v22, 0
	;; [unrolled: 1-line block ×3, first 2 shown]
	v_and_b32_e32 v20, 0xffff, v20
	s_delay_alu instid0(VALU_DEP_4) | instskip(NEXT) | instid1(VALU_DEP_4)
	v_and_b32_e32 v21, 0xffff, v21
	v_and_b32_e32 v22, 0xffff, v22
	s_delay_alu instid0(VALU_DEP_4)
	v_and_b32_e32 v23, 0xffff, v23
	scratch_store_b128 off, v[20:23], off offset:320
	buffer_load_b32 v20, v24, s[36:39], 0 offen
	s_waitcnt vmcnt(0)
	v_cndmask_b32_e64 v20, 0, v20, s2
	v_cmp_gt_i32_e64 s2, s20, v55
	s_delay_alu instid0(VALU_DEP_2)
	v_lshrrev_b32_e32 v21, 8, v20
	v_lshrrev_b32_e32 v22, 16, v20
	v_lshrrev_b32_e32 v23, 24, v20
	v_add_nc_u16 v16, v20, v16
	v_add_nc_u32_e32 v20, s3, v24
	v_add_nc_u16 v17, v21, v17
	v_add_nc_u16 v18, v22, v18
	;; [unrolled: 1-line block ×3, first 2 shown]
	v_bfe_i32 v16, v16, 0, 8
	s_delay_alu instid0(VALU_DEP_4) | instskip(NEXT) | instid1(VALU_DEP_4)
	v_bfe_i32 v17, v17, 0, 8
	v_bfe_i32 v18, v18, 0, 8
	s_delay_alu instid0(VALU_DEP_4) | instskip(NEXT) | instid1(VALU_DEP_4)
	v_bfe_i32 v19, v19, 0, 8
	v_max_i16 v16, v16, 0
	s_delay_alu instid0(VALU_DEP_4) | instskip(NEXT) | instid1(VALU_DEP_4)
	v_max_i16 v17, v17, 0
	v_max_i16 v18, v18, 0
	s_delay_alu instid0(VALU_DEP_4) | instskip(NEXT) | instid1(VALU_DEP_4)
	v_max_i16 v19, v19, 0
	v_and_b32_e32 v16, 0xffff, v16
	s_delay_alu instid0(VALU_DEP_4) | instskip(NEXT) | instid1(VALU_DEP_4)
	v_and_b32_e32 v17, 0xffff, v17
	v_and_b32_e32 v18, 0xffff, v18
	s_delay_alu instid0(VALU_DEP_4)
	v_and_b32_e32 v19, 0xffff, v19
	scratch_store_b128 off, v[16:19], off offset:336
	buffer_load_b32 v16, v20, s[36:39], 0 offen
	s_waitcnt vmcnt(0)
	v_cndmask_b32_e64 v16, 0, v16, s1
	v_cmp_gt_i32_e64 s1, s33, v73
	s_delay_alu instid0(VALU_DEP_2)
	v_lshrrev_b32_e32 v17, 8, v16
	v_lshrrev_b32_e32 v18, 16, v16
	;; [unrolled: 1-line block ×3, first 2 shown]
	v_add_nc_u16 v12, v16, v12
	v_add_nc_u32_e32 v16, s4, v20
	v_add_nc_u16 v13, v17, v13
	v_add_nc_u16 v14, v18, v14
	;; [unrolled: 1-line block ×3, first 2 shown]
	v_bfe_i32 v12, v12, 0, 8
	s_and_b32 s0, s1, s0
	v_bfe_i32 v13, v13, 0, 8
	v_bfe_i32 v14, v14, 0, 8
	;; [unrolled: 1-line block ×3, first 2 shown]
	v_max_i16 v12, v12, 0
	s_and_b32 vcc_lo, s1, vcc_lo
	v_max_i16 v13, v13, 0
	v_max_i16 v14, v14, 0
	v_max_i16 v15, v15, 0
	v_and_b32_e32 v12, 0xffff, v12
	v_cmp_gt_i32_e64 s4, s20, v69
	v_and_b32_e32 v13, 0xffff, v13
	v_and_b32_e32 v14, 0xffff, v14
	;; [unrolled: 1-line block ×3, first 2 shown]
	scratch_store_b128 off, v[12:15], off offset:352
	buffer_load_b32 v12, v16, s[36:39], 0 offen
	s_waitcnt vmcnt(0)
	v_cndmask_b32_e64 v12, 0, v12, s0
	v_cmp_gt_i32_e64 s0, s20, v53
	v_mul_lo_u32 v53, v53, s16
	s_delay_alu instid0(VALU_DEP_3)
	v_lshrrev_b32_e32 v13, 8, v12
	v_lshrrev_b32_e32 v14, 16, v12
	;; [unrolled: 1-line block ×3, first 2 shown]
	v_add_nc_u16 v8, v12, v8
	v_add_nc_u32_e32 v12, s3, v16
	v_add_nc_u16 v9, v13, v9
	v_add_nc_u16 v10, v14, v10
	;; [unrolled: 1-line block ×3, first 2 shown]
	v_bfe_i32 v8, v8, 0, 8
	v_cmp_gt_i32_e64 s3, s20, v68
	v_bfe_i32 v9, v9, 0, 8
	v_bfe_i32 v10, v10, 0, 8
	;; [unrolled: 1-line block ×3, first 2 shown]
	v_max_i16 v8, v8, 0
	v_mad_u64_u32 v[68:69], null, v52, s17, v[53:54]
	v_max_i16 v9, v9, 0
	v_max_i16 v10, v10, 0
	;; [unrolled: 1-line block ×3, first 2 shown]
	v_and_b32_e32 v8, 0xffff, v8
	v_lshlrev_b32_e32 v54, 16, v54
	v_and_b32_e32 v9, 0xffff, v9
	v_and_b32_e32 v10, 0xffff, v10
	;; [unrolled: 1-line block ×3, first 2 shown]
	v_add_nc_u32_e32 v88, s16, v68
	scratch_store_b128 off, v[8:11], off offset:368
	buffer_load_b32 v20, v12, s[36:39], 0 offen
	s_clause 0x2
	scratch_load_b128 v[8:11], off, off offset:256
	scratch_load_b128 v[12:15], off, off offset:272
	;; [unrolled: 1-line block ×3, first 2 shown]
	s_waitcnt vmcnt(2)
	v_dual_cndmask_b32 v24, 0, v20 :: v_dual_lshlrev_b32 v9, 8, v9
	scratch_load_b128 v[20:23], off, off offset:288
	v_cmp_gt_i32_e32 vcc_lo, s21, v52
	v_add_nc_u32_e32 v52, s18, v68
	v_lshlrev_b32_e32 v10, 16, v10
	v_lshrrev_b32_e32 v25, 8, v24
	v_lshrrev_b32_e32 v28, 16, v24
	;; [unrolled: 1-line block ×3, first 2 shown]
	v_add_nc_u16 v4, v24, v4
	v_add_nc_u32_e32 v69, s16, v52
	v_add_nc_u16 v5, v25, v5
	v_add_nc_u16 v6, v28, v6
	scratch_load_b128 v[28:31], off, off offset:320
	v_add_nc_u16 v7, v32, v7
	v_bfe_i32 v4, v4, 0, 8
	v_bfe_i32 v5, v5, 0, 8
	;; [unrolled: 1-line block ×3, first 2 shown]
	scratch_load_b128 v[24:27], off, off offset:336
	v_bfe_i32 v32, v7, 0, 8
	v_max_i16 v56, v4, 0
	v_max_i16 v57, v5, 0
	;; [unrolled: 1-line block ×3, first 2 shown]
	scratch_load_b128 v[4:7], off, off offset:368
	v_max_i16 v59, v32, 0
	v_and_b32_e32 v56, 0xffff, v56
	v_and_b32_e32 v57, 0xffff, v57
	;; [unrolled: 1-line block ×3, first 2 shown]
	scratch_load_b128 v[32:35], off, off offset:352
	v_and_b32_e32 v59, 0xffff, v59
	s_and_b32 s1, s0, vcc_lo
	v_add_nc_u32_e32 v72, s16, v69
	v_cndmask_b32_e64 v74, 0x80000000, 0, s1
	v_cmp_gt_i32_e64 s1, s21, v2
	scratch_store_b128 off, v[56:59], off offset:384
	scratch_load_b128 v[56:59], off, off offset:384
	v_add_nc_u32_e32 v76, s16, v72
	v_lshlrev_b32_e32 v11, 24, v11
	s_and_b32 s0, s0, s1
	v_perm_b32 v8, v9, v8, 0xc0c0500
	v_cndmask_b32_e64 v2, 0x80000000, 0, s0
	s_and_b32 s0, s2, s1
	v_subrev_nc_u32_e32 v79, s18, v76
	v_and_b32_e32 v9, 0xff0000, v10
	s_waitcnt vmcnt(7)
	v_lshlrev_b32_e32 v13, 8, v13
	v_lshlrev_b32_e32 v14, 16, v14
	v_cndmask_b32_e64 v53, 0x80000000, 0, s0
	s_and_b32 s0, s2, vcc_lo
	v_lshl_add_u32 v82, s22, 6, v79
	v_cndmask_b32_e64 v55, 0x80000000, 0, s0
	s_and_b32 s0, s3, vcc_lo
	v_or3_b32 v8, v8, v9, v11
	v_cndmask_b32_e64 v70, 0x80000000, 0, s0
	s_and_b32 s0, s3, s1
	v_perm_b32 v11, v13, v12, 0xc0c0500
	v_and_b32_e32 v12, 0xff0000, v14
	s_waitcnt vmcnt(6)
	v_lshlrev_b32_e32 v13, 8, v17
	v_lshlrev_b32_e32 v14, 16, v18
	v_cndmask_b32_e64 v71, 0x80000000, 0, s0
	s_and_b32 s0, s4, s1
	v_lshl_or_b32 v1, v1, 8, v54
	v_cndmask_b32_e64 v73, 0x80000000, 0, s0
	s_and_b32 s0, s4, vcc_lo
	v_subrev_nc_u32_e32 v85, s16, v82
	v_lshlrev_b32_e32 v9, 24, v15
	v_lshlrev_b32_e32 v15, 24, v19
	v_perm_b32 v13, v13, v16, 0xc0c0500
	v_and_b32_e32 v14, 0xff0000, v14
	v_cndmask_b32_e64 v75, 0x80000000, 0, s0
	s_and_b32 s0, s5, vcc_lo
	v_or3_b32 v0, v3, v1, v0
	v_or3_b32 v1, v36, v37, v39
	v_lshlrev_b32_e32 v3, 24, v43
	v_perm_b32 v36, v41, v40, 0xc0c0500
	v_and_b32_e32 v37, 0xff0000, v42
	v_lshlrev_b32_e32 v39, 8, v45
	v_lshlrev_b32_e32 v40, 16, v46
	;; [unrolled: 1-line block ×4, first 2 shown]
	v_cndmask_b32_e64 v77, 0x80000000, 0, s0
	s_and_b32 s0, s5, s1
	v_subrev_nc_u32_e32 v89, s18, v85
	v_cndmask_b32_e64 v78, 0x80000000, 0, s0
	s_and_b32 s0, s6, s1
	v_or3_b32 v13, v13, v14, v15
	v_cndmask_b32_e64 v80, 0x80000000, 0, s0
	s_and_b32 s0, s7, vcc_lo
	v_lshlrev_b32_e32 v41, 24, v47
	v_perm_b32 v39, v39, v44, 0xc0c0500
	v_and_b32_e32 v40, 0xff0000, v40
	v_lshlrev_b32_e32 v44, 24, v51
	v_perm_b32 v42, v42, v48, 0xc0c0500
	v_and_b32_e32 v43, 0xff0000, v43
	v_cndmask_b32_e64 v81, 0x80000000, 0, s0
	s_and_b32 s0, s8, vcc_lo
	v_add_nc_u32_e32 v2, v2, v52
	v_add_nc_u32_e32 v52, v88, v55
	v_subrev_nc_u32_e32 v55, s16, v89
	v_or3_b32 v3, v36, v37, v3
	v_lshlrev_b32_e32 v36, 8, v61
	v_lshlrev_b32_e32 v37, 16, v62
	v_or3_b32 v9, v11, v12, v9
	v_cndmask_b32_e64 v83, 0x80000000, 0, s0
	s_and_b32 s0, s9, s1
	v_or3_b32 v39, v39, v40, v41
	v_or3_b32 v40, v42, v43, v44
	v_lshlrev_b32_e32 v42, 8, v65
	v_lshlrev_b32_e32 v43, 16, v66
	v_cndmask_b32_e64 v84, 0x80000000, 0, s0
	s_and_b32 s0, s11, vcc_lo
	v_add_nc_u32_e32 v68, v74, v68
	v_cndmask_b32_e64 v86, 0x80000000, 0, s0
	v_add_nc_u32_e32 v53, v53, v69
	v_add_nc_u32_e32 v69, v72, v71
	;; [unrolled: 1-line block ×3, first 2 shown]
	v_lshlrev_b32_e32 v41, 24, v63
	v_perm_b32 v36, v36, v60, 0xc0c0500
	v_and_b32_e32 v37, 0xff0000, v37
	v_lshlrev_b32_e32 v44, 24, v67
	v_perm_b32 v42, v42, v64, 0xc0c0500
	v_and_b32_e32 v43, 0xff0000, v43
	s_and_b32 s0, s10, s1
	buffer_store_b32 v0, v68, s[12:15], 0 offen
	v_cndmask_b32_e64 v87, 0x80000000, 0, s0
	v_subrev_nc_u32_e32 v86, s18, v86
	v_add3_u32 v74, v77, s19, v79
	v_subrev_nc_u32_e32 v77, s16, v72
	v_or3_b32 v10, v36, v37, v41
	v_add_nc_u32_e32 v71, v76, v73
	v_add_nc_u32_e32 v73, v79, v75
	v_or3_b32 v36, v42, v43, v44
	v_add3_u32 v70, v70, s16, v88
	v_add_nc_u32_e32 v75, v82, v78
	v_add_nc_u32_e32 v76, v85, v80
	;; [unrolled: 1-line block ×7, first 2 shown]
	s_clause 0x3
	buffer_store_b32 v1, v2, s[12:15], 0 offen
	buffer_store_b32 v39, v53, s[12:15], 0 offen
	buffer_store_b32 v3, v52, s[12:15], 0 offen
	buffer_store_b32 v40, v70, s[12:15], 0 offen
	s_waitcnt vmcnt(5)
	v_lshlrev_b32_e32 v17, 8, v21
	v_lshlrev_b32_e32 v18, 16, v22
	;; [unrolled: 1-line block ×3, first 2 shown]
	s_delay_alu instid0(VALU_DEP_3) | instskip(NEXT) | instid1(VALU_DEP_3)
	v_perm_b32 v12, v17, v20, 0xc0c0500
	v_and_b32_e32 v16, 0xff0000, v18
	s_waitcnt vmcnt(4)
	v_lshlrev_b32_e32 v18, 8, v29
	v_lshlrev_b32_e32 v19, 16, v30
	s_delay_alu instid0(VALU_DEP_3)
	v_or3_b32 v11, v12, v16, v11
	v_lshlrev_b32_e32 v12, 24, v31
	s_waitcnt vmcnt(3)
	v_lshlrev_b32_e32 v14, 8, v25
	v_lshlrev_b32_e32 v15, 16, v26
	v_lshlrev_b32_e32 v17, 24, v27
	v_perm_b32 v16, v18, v28, 0xc0c0500
	v_and_b32_e32 v18, 0xff0000, v19
	s_waitcnt vmcnt(2)
	v_lshlrev_b32_e32 v5, 8, v5
	v_lshlrev_b32_e32 v6, 16, v6
	;; [unrolled: 1-line block ×3, first 2 shown]
	v_perm_b32 v14, v14, v24, 0xc0c0500
	v_and_b32_e32 v15, 0xff0000, v15
	v_perm_b32 v4, v5, v4, 0xc0c0500
	v_and_b32_e32 v5, 0xff0000, v6
	s_waitcnt vmcnt(1)
	v_lshlrev_b32_e32 v6, 24, v35
	v_or3_b32 v12, v16, v18, v12
	v_or3_b32 v14, v14, v15, v17
	v_lshlrev_b32_e32 v15, 8, v33
	v_or3_b32 v4, v4, v5, v7
	s_waitcnt vmcnt(0)
	v_lshlrev_b32_e32 v5, 8, v57
	v_lshlrev_b32_e32 v7, 16, v58
	;; [unrolled: 1-line block ×4, first 2 shown]
	v_perm_b32 v15, v15, v32, 0xc0c0500
	v_perm_b32 v5, v5, v56, 0xc0c0500
	v_and_b32_e32 v7, 0xff0000, v7
	v_and_b32_e32 v17, 0xff0000, v17
	s_delay_alu instid0(VALU_DEP_2) | instskip(NEXT) | instid1(VALU_DEP_2)
	v_or3_b32 v0, v5, v7, v0
	v_or3_b32 v6, v15, v17, v6
	s_clause 0xa
	buffer_store_b32 v10, v69, s[12:15], 0 offen
	buffer_store_b32 v8, v71, s[12:15], 0 offen
	;; [unrolled: 1-line block ×11, first 2 shown]
	s_endpgm
	.section	.rodata,"a",@progbits
	.p2align	6, 0x0
	.amdhsa_kernel _ZN2ck16tensor_operation6device12_GLOBAL__N_137kernel_grouped_conv_fwd_dl_multiple_dINS_32GridwiseGemmDlMultipleD_km_kn_mnILi256EaiNS_5TupleIJaEEEaNS0_12element_wise11PassThroughES8_NS7_7AddReluELNS_25InMemoryDataOperationEnumE0ENS_16TensorDescriptorINS5_IJNS_5EmbedINS5_IJiiiiEEESD_Lb0EEENS_11PassThroughIiEENS_3PadIiiiLb0EEESI_SG_SG_NSC_INS5_IJiiEEESJ_Lb0EEESK_SG_NS_23Merge_v2_magic_divisionINS5_IJiiiEEEEESN_NS_8RightPadIiiLb0EEESP_NS_7UnMergeISJ_Lb0EEESG_EEENS5_IJNS_8SequenceIJLi0EEEENST_IJLi1EEEENST_IJLi2EEEENST_IJLi3EEEENST_IJLi4EEEENST_IJLi5EEEENST_IJLi6EEEENST_IJLi7EEEENST_IJLi8EEEENST_IJLi9ELi11ELi13EEEENST_IJLi10ELi12ELi14EEEENST_IJLi15EEEENST_IJLi16EEEENST_IJLi18EEEENST_IJLi17EEEEEEENS5_IJNST_IJLi1ELi2ELi3ELi4EEEESZ_S10_S11_S12_NST_IJLi9EEEENST_IJLi10ELi11EEEENST_IJLi12ELi13EEEENST_IJLi14EEEES15_S16_S18_S17_NST_IJLi19ELi20EEEENST_IJLi21EEEEEEENST_IJLi19ELi21ELi20EEEElEENSB_INS5_IJSR_SP_SP_SR_SG_EEENS5_IJSU_SV_SW_SY_SX_EEENS5_IJNST_IJLi1ELi2EEEESX_SY_NST_IJLi5ELi6EEEES11_EEENST_IJLi5ELi7ELi6EEEElEENSB_INS5_IJSK_SP_SP_EEENS5_IJSU_SV_SW_EEENS5_IJS1M_SX_SY_EEENST_IJLi3ELi4EEEElEELi128ELi128ELi16ELi4ELi4ELi4ELi1ENST_IJLi8ELi2EEEES1W_NST_IJLi8ELi1ELi1ELi4EEEENST_IJLi2ELi1ELi128ELi1EEEENST_IJLi1ELi2ELi0ELi3EEEES1Z_NST_IJLi4ELi1ELi1ELi4EEEES1Z_NST_IJLi1ELi1ELi1ELi4EEEES1X_S1Y_S1Z_S1Z_S20_S1Z_S21_NST_IJLi0ELi1ELi2ELi3ELi4ELi5EEEELi5ELi4EEEaNS5_IJPKaEEEaS8_S8_S9_NSB_INS5_IJSE_SG_SI_SI_SG_SG_SK_SK_SG_SN_SN_SP_SP_SR_SG_SG_NSQ_INS5_IJiNS_17integral_constantIiLi128EEEEEELb0EEENSF_INS27_IiLi4EEEEEEEENS5_IJSU_SV_SW_SX_SY_SZ_S10_S11_S12_S13_S14_S15_S16_S17_S18_NST_IJLi19EEEES1G_NST_IJLi20EEEEEEENS5_IJS1A_SZ_S10_S11_S12_S1B_S1C_S1D_S1E_S15_S16_S18_S17_S1F_S1G_NST_IJLi22EEEENST_IJLi23ELi24EEEENST_IJLi25EEEEEEENST_IJLi22ELi23ELi24ELi25EEEElEENSB_INS5_IJSR_SP_SP_SR_SG_SG_S2A_S2C_EEENS5_IJSU_SV_SW_SY_SX_SZ_S11_S10_EEENS5_IJS1M_SX_SY_S1N_S11_S12_NST_IJLi9ELi10EEEENST_IJLi11EEEEEEENST_IJLi8ELi9ELi10ELi11EEEElEENS5_IJNSB_INS5_IJSK_SP_SP_NSQ_INS5_IJiNS27_IiLi2EEENS27_IiLi64EEEEEELb0EEES2X_EEENS5_IJSU_SV_SW_SX_SY_EEENS5_IJS1M_SX_SY_NST_IJLi5ELi6ELi7EEEENST_IJLi8ELi9ELi10EEEEEEENST_IJLi5ELi6ELi7ELi8ELi9ELi10EEEElEEEEES34_NS_31BlockToCTileMap_M00_N00_M01_N01ILi128ELi128ES1V_Lb0EEENS1_30ComputePtrOffsetOfStridedBatchILi1ELi1ELi1EvEELb0ELb1EEEvPKT0_S3C_T1_PT2_T3_T4_T5_iT6_T7_T8_T9_T10_T11_
		.amdhsa_group_segment_fixed_size 32768
		.amdhsa_private_segment_fixed_size 480
		.amdhsa_kernarg_size 968
		.amdhsa_user_sgpr_count 15
		.amdhsa_user_sgpr_dispatch_ptr 0
		.amdhsa_user_sgpr_queue_ptr 0
		.amdhsa_user_sgpr_kernarg_segment_ptr 1
		.amdhsa_user_sgpr_dispatch_id 0
		.amdhsa_user_sgpr_private_segment_size 0
		.amdhsa_wavefront_size32 1
		.amdhsa_uses_dynamic_stack 0
		.amdhsa_enable_private_segment 1
		.amdhsa_system_sgpr_workgroup_id_x 1
		.amdhsa_system_sgpr_workgroup_id_y 0
		.amdhsa_system_sgpr_workgroup_id_z 0
		.amdhsa_system_sgpr_workgroup_info 0
		.amdhsa_system_vgpr_workitem_id 0
		.amdhsa_next_free_vgpr 90
		.amdhsa_next_free_sgpr 84
		.amdhsa_reserve_vcc 1
		.amdhsa_float_round_mode_32 0
		.amdhsa_float_round_mode_16_64 0
		.amdhsa_float_denorm_mode_32 3
		.amdhsa_float_denorm_mode_16_64 3
		.amdhsa_dx10_clamp 1
		.amdhsa_ieee_mode 1
		.amdhsa_fp16_overflow 0
		.amdhsa_workgroup_processor_mode 1
		.amdhsa_memory_ordered 1
		.amdhsa_forward_progress 0
		.amdhsa_shared_vgpr_count 0
		.amdhsa_exception_fp_ieee_invalid_op 0
		.amdhsa_exception_fp_denorm_src 0
		.amdhsa_exception_fp_ieee_div_zero 0
		.amdhsa_exception_fp_ieee_overflow 0
		.amdhsa_exception_fp_ieee_underflow 0
		.amdhsa_exception_fp_ieee_inexact 0
		.amdhsa_exception_int_div_zero 0
	.end_amdhsa_kernel
	.section	.text._ZN2ck16tensor_operation6device12_GLOBAL__N_137kernel_grouped_conv_fwd_dl_multiple_dINS_32GridwiseGemmDlMultipleD_km_kn_mnILi256EaiNS_5TupleIJaEEEaNS0_12element_wise11PassThroughES8_NS7_7AddReluELNS_25InMemoryDataOperationEnumE0ENS_16TensorDescriptorINS5_IJNS_5EmbedINS5_IJiiiiEEESD_Lb0EEENS_11PassThroughIiEENS_3PadIiiiLb0EEESI_SG_SG_NSC_INS5_IJiiEEESJ_Lb0EEESK_SG_NS_23Merge_v2_magic_divisionINS5_IJiiiEEEEESN_NS_8RightPadIiiLb0EEESP_NS_7UnMergeISJ_Lb0EEESG_EEENS5_IJNS_8SequenceIJLi0EEEENST_IJLi1EEEENST_IJLi2EEEENST_IJLi3EEEENST_IJLi4EEEENST_IJLi5EEEENST_IJLi6EEEENST_IJLi7EEEENST_IJLi8EEEENST_IJLi9ELi11ELi13EEEENST_IJLi10ELi12ELi14EEEENST_IJLi15EEEENST_IJLi16EEEENST_IJLi18EEEENST_IJLi17EEEEEEENS5_IJNST_IJLi1ELi2ELi3ELi4EEEESZ_S10_S11_S12_NST_IJLi9EEEENST_IJLi10ELi11EEEENST_IJLi12ELi13EEEENST_IJLi14EEEES15_S16_S18_S17_NST_IJLi19ELi20EEEENST_IJLi21EEEEEEENST_IJLi19ELi21ELi20EEEElEENSB_INS5_IJSR_SP_SP_SR_SG_EEENS5_IJSU_SV_SW_SY_SX_EEENS5_IJNST_IJLi1ELi2EEEESX_SY_NST_IJLi5ELi6EEEES11_EEENST_IJLi5ELi7ELi6EEEElEENSB_INS5_IJSK_SP_SP_EEENS5_IJSU_SV_SW_EEENS5_IJS1M_SX_SY_EEENST_IJLi3ELi4EEEElEELi128ELi128ELi16ELi4ELi4ELi4ELi1ENST_IJLi8ELi2EEEES1W_NST_IJLi8ELi1ELi1ELi4EEEENST_IJLi2ELi1ELi128ELi1EEEENST_IJLi1ELi2ELi0ELi3EEEES1Z_NST_IJLi4ELi1ELi1ELi4EEEES1Z_NST_IJLi1ELi1ELi1ELi4EEEES1X_S1Y_S1Z_S1Z_S20_S1Z_S21_NST_IJLi0ELi1ELi2ELi3ELi4ELi5EEEELi5ELi4EEEaNS5_IJPKaEEEaS8_S8_S9_NSB_INS5_IJSE_SG_SI_SI_SG_SG_SK_SK_SG_SN_SN_SP_SP_SR_SG_SG_NSQ_INS5_IJiNS_17integral_constantIiLi128EEEEEELb0EEENSF_INS27_IiLi4EEEEEEEENS5_IJSU_SV_SW_SX_SY_SZ_S10_S11_S12_S13_S14_S15_S16_S17_S18_NST_IJLi19EEEES1G_NST_IJLi20EEEEEEENS5_IJS1A_SZ_S10_S11_S12_S1B_S1C_S1D_S1E_S15_S16_S18_S17_S1F_S1G_NST_IJLi22EEEENST_IJLi23ELi24EEEENST_IJLi25EEEEEEENST_IJLi22ELi23ELi24ELi25EEEElEENSB_INS5_IJSR_SP_SP_SR_SG_SG_S2A_S2C_EEENS5_IJSU_SV_SW_SY_SX_SZ_S11_S10_EEENS5_IJS1M_SX_SY_S1N_S11_S12_NST_IJLi9ELi10EEEENST_IJLi11EEEEEEENST_IJLi8ELi9ELi10ELi11EEEElEENS5_IJNSB_INS5_IJSK_SP_SP_NSQ_INS5_IJiNS27_IiLi2EEENS27_IiLi64EEEEEELb0EEES2X_EEENS5_IJSU_SV_SW_SX_SY_EEENS5_IJS1M_SX_SY_NST_IJLi5ELi6ELi7EEEENST_IJLi8ELi9ELi10EEEEEEENST_IJLi5ELi6ELi7ELi8ELi9ELi10EEEElEEEEES34_NS_31BlockToCTileMap_M00_N00_M01_N01ILi128ELi128ES1V_Lb0EEENS1_30ComputePtrOffsetOfStridedBatchILi1ELi1ELi1EvEELb0ELb1EEEvPKT0_S3C_T1_PT2_T3_T4_T5_iT6_T7_T8_T9_T10_T11_,"axG",@progbits,_ZN2ck16tensor_operation6device12_GLOBAL__N_137kernel_grouped_conv_fwd_dl_multiple_dINS_32GridwiseGemmDlMultipleD_km_kn_mnILi256EaiNS_5TupleIJaEEEaNS0_12element_wise11PassThroughES8_NS7_7AddReluELNS_25InMemoryDataOperationEnumE0ENS_16TensorDescriptorINS5_IJNS_5EmbedINS5_IJiiiiEEESD_Lb0EEENS_11PassThroughIiEENS_3PadIiiiLb0EEESI_SG_SG_NSC_INS5_IJiiEEESJ_Lb0EEESK_SG_NS_23Merge_v2_magic_divisionINS5_IJiiiEEEEESN_NS_8RightPadIiiLb0EEESP_NS_7UnMergeISJ_Lb0EEESG_EEENS5_IJNS_8SequenceIJLi0EEEENST_IJLi1EEEENST_IJLi2EEEENST_IJLi3EEEENST_IJLi4EEEENST_IJLi5EEEENST_IJLi6EEEENST_IJLi7EEEENST_IJLi8EEEENST_IJLi9ELi11ELi13EEEENST_IJLi10ELi12ELi14EEEENST_IJLi15EEEENST_IJLi16EEEENST_IJLi18EEEENST_IJLi17EEEEEEENS5_IJNST_IJLi1ELi2ELi3ELi4EEEESZ_S10_S11_S12_NST_IJLi9EEEENST_IJLi10ELi11EEEENST_IJLi12ELi13EEEENST_IJLi14EEEES15_S16_S18_S17_NST_IJLi19ELi20EEEENST_IJLi21EEEEEEENST_IJLi19ELi21ELi20EEEElEENSB_INS5_IJSR_SP_SP_SR_SG_EEENS5_IJSU_SV_SW_SY_SX_EEENS5_IJNST_IJLi1ELi2EEEESX_SY_NST_IJLi5ELi6EEEES11_EEENST_IJLi5ELi7ELi6EEEElEENSB_INS5_IJSK_SP_SP_EEENS5_IJSU_SV_SW_EEENS5_IJS1M_SX_SY_EEENST_IJLi3ELi4EEEElEELi128ELi128ELi16ELi4ELi4ELi4ELi1ENST_IJLi8ELi2EEEES1W_NST_IJLi8ELi1ELi1ELi4EEEENST_IJLi2ELi1ELi128ELi1EEEENST_IJLi1ELi2ELi0ELi3EEEES1Z_NST_IJLi4ELi1ELi1ELi4EEEES1Z_NST_IJLi1ELi1ELi1ELi4EEEES1X_S1Y_S1Z_S1Z_S20_S1Z_S21_NST_IJLi0ELi1ELi2ELi3ELi4ELi5EEEELi5ELi4EEEaNS5_IJPKaEEEaS8_S8_S9_NSB_INS5_IJSE_SG_SI_SI_SG_SG_SK_SK_SG_SN_SN_SP_SP_SR_SG_SG_NSQ_INS5_IJiNS_17integral_constantIiLi128EEEEEELb0EEENSF_INS27_IiLi4EEEEEEEENS5_IJSU_SV_SW_SX_SY_SZ_S10_S11_S12_S13_S14_S15_S16_S17_S18_NST_IJLi19EEEES1G_NST_IJLi20EEEEEEENS5_IJS1A_SZ_S10_S11_S12_S1B_S1C_S1D_S1E_S15_S16_S18_S17_S1F_S1G_NST_IJLi22EEEENST_IJLi23ELi24EEEENST_IJLi25EEEEEEENST_IJLi22ELi23ELi24ELi25EEEElEENSB_INS5_IJSR_SP_SP_SR_SG_SG_S2A_S2C_EEENS5_IJSU_SV_SW_SY_SX_SZ_S11_S10_EEENS5_IJS1M_SX_SY_S1N_S11_S12_NST_IJLi9ELi10EEEENST_IJLi11EEEEEEENST_IJLi8ELi9ELi10ELi11EEEElEENS5_IJNSB_INS5_IJSK_SP_SP_NSQ_INS5_IJiNS27_IiLi2EEENS27_IiLi64EEEEEELb0EEES2X_EEENS5_IJSU_SV_SW_SX_SY_EEENS5_IJS1M_SX_SY_NST_IJLi5ELi6ELi7EEEENST_IJLi8ELi9ELi10EEEEEEENST_IJLi5ELi6ELi7ELi8ELi9ELi10EEEElEEEEES34_NS_31BlockToCTileMap_M00_N00_M01_N01ILi128ELi128ES1V_Lb0EEENS1_30ComputePtrOffsetOfStridedBatchILi1ELi1ELi1EvEELb0ELb1EEEvPKT0_S3C_T1_PT2_T3_T4_T5_iT6_T7_T8_T9_T10_T11_,comdat
.Lfunc_end8:
	.size	_ZN2ck16tensor_operation6device12_GLOBAL__N_137kernel_grouped_conv_fwd_dl_multiple_dINS_32GridwiseGemmDlMultipleD_km_kn_mnILi256EaiNS_5TupleIJaEEEaNS0_12element_wise11PassThroughES8_NS7_7AddReluELNS_25InMemoryDataOperationEnumE0ENS_16TensorDescriptorINS5_IJNS_5EmbedINS5_IJiiiiEEESD_Lb0EEENS_11PassThroughIiEENS_3PadIiiiLb0EEESI_SG_SG_NSC_INS5_IJiiEEESJ_Lb0EEESK_SG_NS_23Merge_v2_magic_divisionINS5_IJiiiEEEEESN_NS_8RightPadIiiLb0EEESP_NS_7UnMergeISJ_Lb0EEESG_EEENS5_IJNS_8SequenceIJLi0EEEENST_IJLi1EEEENST_IJLi2EEEENST_IJLi3EEEENST_IJLi4EEEENST_IJLi5EEEENST_IJLi6EEEENST_IJLi7EEEENST_IJLi8EEEENST_IJLi9ELi11ELi13EEEENST_IJLi10ELi12ELi14EEEENST_IJLi15EEEENST_IJLi16EEEENST_IJLi18EEEENST_IJLi17EEEEEEENS5_IJNST_IJLi1ELi2ELi3ELi4EEEESZ_S10_S11_S12_NST_IJLi9EEEENST_IJLi10ELi11EEEENST_IJLi12ELi13EEEENST_IJLi14EEEES15_S16_S18_S17_NST_IJLi19ELi20EEEENST_IJLi21EEEEEEENST_IJLi19ELi21ELi20EEEElEENSB_INS5_IJSR_SP_SP_SR_SG_EEENS5_IJSU_SV_SW_SY_SX_EEENS5_IJNST_IJLi1ELi2EEEESX_SY_NST_IJLi5ELi6EEEES11_EEENST_IJLi5ELi7ELi6EEEElEENSB_INS5_IJSK_SP_SP_EEENS5_IJSU_SV_SW_EEENS5_IJS1M_SX_SY_EEENST_IJLi3ELi4EEEElEELi128ELi128ELi16ELi4ELi4ELi4ELi1ENST_IJLi8ELi2EEEES1W_NST_IJLi8ELi1ELi1ELi4EEEENST_IJLi2ELi1ELi128ELi1EEEENST_IJLi1ELi2ELi0ELi3EEEES1Z_NST_IJLi4ELi1ELi1ELi4EEEES1Z_NST_IJLi1ELi1ELi1ELi4EEEES1X_S1Y_S1Z_S1Z_S20_S1Z_S21_NST_IJLi0ELi1ELi2ELi3ELi4ELi5EEEELi5ELi4EEEaNS5_IJPKaEEEaS8_S8_S9_NSB_INS5_IJSE_SG_SI_SI_SG_SG_SK_SK_SG_SN_SN_SP_SP_SR_SG_SG_NSQ_INS5_IJiNS_17integral_constantIiLi128EEEEEELb0EEENSF_INS27_IiLi4EEEEEEEENS5_IJSU_SV_SW_SX_SY_SZ_S10_S11_S12_S13_S14_S15_S16_S17_S18_NST_IJLi19EEEES1G_NST_IJLi20EEEEEEENS5_IJS1A_SZ_S10_S11_S12_S1B_S1C_S1D_S1E_S15_S16_S18_S17_S1F_S1G_NST_IJLi22EEEENST_IJLi23ELi24EEEENST_IJLi25EEEEEEENST_IJLi22ELi23ELi24ELi25EEEElEENSB_INS5_IJSR_SP_SP_SR_SG_SG_S2A_S2C_EEENS5_IJSU_SV_SW_SY_SX_SZ_S11_S10_EEENS5_IJS1M_SX_SY_S1N_S11_S12_NST_IJLi9ELi10EEEENST_IJLi11EEEEEEENST_IJLi8ELi9ELi10ELi11EEEElEENS5_IJNSB_INS5_IJSK_SP_SP_NSQ_INS5_IJiNS27_IiLi2EEENS27_IiLi64EEEEEELb0EEES2X_EEENS5_IJSU_SV_SW_SX_SY_EEENS5_IJS1M_SX_SY_NST_IJLi5ELi6ELi7EEEENST_IJLi8ELi9ELi10EEEEEEENST_IJLi5ELi6ELi7ELi8ELi9ELi10EEEElEEEEES34_NS_31BlockToCTileMap_M00_N00_M01_N01ILi128ELi128ES1V_Lb0EEENS1_30ComputePtrOffsetOfStridedBatchILi1ELi1ELi1EvEELb0ELb1EEEvPKT0_S3C_T1_PT2_T3_T4_T5_iT6_T7_T8_T9_T10_T11_, .Lfunc_end8-_ZN2ck16tensor_operation6device12_GLOBAL__N_137kernel_grouped_conv_fwd_dl_multiple_dINS_32GridwiseGemmDlMultipleD_km_kn_mnILi256EaiNS_5TupleIJaEEEaNS0_12element_wise11PassThroughES8_NS7_7AddReluELNS_25InMemoryDataOperationEnumE0ENS_16TensorDescriptorINS5_IJNS_5EmbedINS5_IJiiiiEEESD_Lb0EEENS_11PassThroughIiEENS_3PadIiiiLb0EEESI_SG_SG_NSC_INS5_IJiiEEESJ_Lb0EEESK_SG_NS_23Merge_v2_magic_divisionINS5_IJiiiEEEEESN_NS_8RightPadIiiLb0EEESP_NS_7UnMergeISJ_Lb0EEESG_EEENS5_IJNS_8SequenceIJLi0EEEENST_IJLi1EEEENST_IJLi2EEEENST_IJLi3EEEENST_IJLi4EEEENST_IJLi5EEEENST_IJLi6EEEENST_IJLi7EEEENST_IJLi8EEEENST_IJLi9ELi11ELi13EEEENST_IJLi10ELi12ELi14EEEENST_IJLi15EEEENST_IJLi16EEEENST_IJLi18EEEENST_IJLi17EEEEEEENS5_IJNST_IJLi1ELi2ELi3ELi4EEEESZ_S10_S11_S12_NST_IJLi9EEEENST_IJLi10ELi11EEEENST_IJLi12ELi13EEEENST_IJLi14EEEES15_S16_S18_S17_NST_IJLi19ELi20EEEENST_IJLi21EEEEEEENST_IJLi19ELi21ELi20EEEElEENSB_INS5_IJSR_SP_SP_SR_SG_EEENS5_IJSU_SV_SW_SY_SX_EEENS5_IJNST_IJLi1ELi2EEEESX_SY_NST_IJLi5ELi6EEEES11_EEENST_IJLi5ELi7ELi6EEEElEENSB_INS5_IJSK_SP_SP_EEENS5_IJSU_SV_SW_EEENS5_IJS1M_SX_SY_EEENST_IJLi3ELi4EEEElEELi128ELi128ELi16ELi4ELi4ELi4ELi1ENST_IJLi8ELi2EEEES1W_NST_IJLi8ELi1ELi1ELi4EEEENST_IJLi2ELi1ELi128ELi1EEEENST_IJLi1ELi2ELi0ELi3EEEES1Z_NST_IJLi4ELi1ELi1ELi4EEEES1Z_NST_IJLi1ELi1ELi1ELi4EEEES1X_S1Y_S1Z_S1Z_S20_S1Z_S21_NST_IJLi0ELi1ELi2ELi3ELi4ELi5EEEELi5ELi4EEEaNS5_IJPKaEEEaS8_S8_S9_NSB_INS5_IJSE_SG_SI_SI_SG_SG_SK_SK_SG_SN_SN_SP_SP_SR_SG_SG_NSQ_INS5_IJiNS_17integral_constantIiLi128EEEEEELb0EEENSF_INS27_IiLi4EEEEEEEENS5_IJSU_SV_SW_SX_SY_SZ_S10_S11_S12_S13_S14_S15_S16_S17_S18_NST_IJLi19EEEES1G_NST_IJLi20EEEEEEENS5_IJS1A_SZ_S10_S11_S12_S1B_S1C_S1D_S1E_S15_S16_S18_S17_S1F_S1G_NST_IJLi22EEEENST_IJLi23ELi24EEEENST_IJLi25EEEEEEENST_IJLi22ELi23ELi24ELi25EEEElEENSB_INS5_IJSR_SP_SP_SR_SG_SG_S2A_S2C_EEENS5_IJSU_SV_SW_SY_SX_SZ_S11_S10_EEENS5_IJS1M_SX_SY_S1N_S11_S12_NST_IJLi9ELi10EEEENST_IJLi11EEEEEEENST_IJLi8ELi9ELi10ELi11EEEElEENS5_IJNSB_INS5_IJSK_SP_SP_NSQ_INS5_IJiNS27_IiLi2EEENS27_IiLi64EEEEEELb0EEES2X_EEENS5_IJSU_SV_SW_SX_SY_EEENS5_IJS1M_SX_SY_NST_IJLi5ELi6ELi7EEEENST_IJLi8ELi9ELi10EEEEEEENST_IJLi5ELi6ELi7ELi8ELi9ELi10EEEElEEEEES34_NS_31BlockToCTileMap_M00_N00_M01_N01ILi128ELi128ES1V_Lb0EEENS1_30ComputePtrOffsetOfStridedBatchILi1ELi1ELi1EvEELb0ELb1EEEvPKT0_S3C_T1_PT2_T3_T4_T5_iT6_T7_T8_T9_T10_T11_
                                        ; -- End function
	.section	.AMDGPU.csdata,"",@progbits
; Kernel info:
; codeLenInByte = 10128
; NumSgprs: 86
; NumVgprs: 90
; ScratchSize: 480
; MemoryBound: 0
; FloatMode: 240
; IeeeMode: 1
; LDSByteSize: 32768 bytes/workgroup (compile time only)
; SGPRBlocks: 10
; VGPRBlocks: 11
; NumSGPRsForWavesPerEU: 86
; NumVGPRsForWavesPerEU: 90
; Occupancy: 8
; WaveLimiterHint : 1
; COMPUTE_PGM_RSRC2:SCRATCH_EN: 1
; COMPUTE_PGM_RSRC2:USER_SGPR: 15
; COMPUTE_PGM_RSRC2:TRAP_HANDLER: 0
; COMPUTE_PGM_RSRC2:TGID_X_EN: 1
; COMPUTE_PGM_RSRC2:TGID_Y_EN: 0
; COMPUTE_PGM_RSRC2:TGID_Z_EN: 0
; COMPUTE_PGM_RSRC2:TIDIG_COMP_CNT: 0
	.section	.text._ZN2ck16tensor_operation6device12_GLOBAL__N_137kernel_grouped_conv_fwd_dl_multiple_dINS_32GridwiseGemmDlMultipleD_km_kn_mnILi256EaiNS_5TupleIJaEEEaNS0_12element_wise11PassThroughES8_NS7_7AddReluELNS_25InMemoryDataOperationEnumE0ENS_16TensorDescriptorINS5_IJNS_5EmbedINS5_IJiiiiEEESD_Lb0EEENS_11PassThroughIiEENS_3PadIiiiLb0EEESI_SG_SG_NSC_INS5_IJiiEEESJ_Lb0EEESK_SG_NS_23Merge_v2_magic_divisionINS5_IJiiiEEEEESN_NS_8RightPadIiiLb0EEESP_NS_7UnMergeISJ_Lb0EEESG_EEENS5_IJNS_8SequenceIJLi0EEEENST_IJLi1EEEENST_IJLi2EEEENST_IJLi3EEEENST_IJLi4EEEENST_IJLi5EEEENST_IJLi6EEEENST_IJLi7EEEENST_IJLi8EEEENST_IJLi9ELi11ELi13EEEENST_IJLi10ELi12ELi14EEEENST_IJLi15EEEENST_IJLi16EEEENST_IJLi18EEEENST_IJLi17EEEEEEENS5_IJNST_IJLi1ELi2ELi3ELi4EEEESZ_S10_S11_S12_NST_IJLi9EEEENST_IJLi10ELi11EEEENST_IJLi12ELi13EEEENST_IJLi14EEEES15_S16_S18_S17_NST_IJLi19ELi20EEEENST_IJLi21EEEEEEENST_IJLi19ELi21ELi20EEEElEENSB_INS5_IJSR_SP_SP_SR_SG_EEENS5_IJSU_SV_SW_SY_SX_EEENS5_IJNST_IJLi1ELi2EEEESX_SY_NST_IJLi5ELi6EEEES11_EEENST_IJLi5ELi7ELi6EEEElEENSB_INS5_IJSK_SP_SP_EEENS5_IJSU_SV_SW_EEENS5_IJS1M_SX_SY_EEENST_IJLi3ELi4EEEElEELi128ELi128ELi16ELi4ELi4ELi4ELi1ENST_IJLi8ELi2EEEES1W_NST_IJLi8ELi1ELi1ELi4EEEENST_IJLi2ELi1ELi128ELi1EEEENST_IJLi1ELi2ELi0ELi3EEEES1Z_NST_IJLi4ELi1ELi1ELi4EEEES1Z_NST_IJLi1ELi1ELi1ELi4EEEES1X_S1Y_S1Z_S1Z_S20_S1Z_S21_NST_IJLi0ELi1ELi2ELi3ELi4ELi5EEEELi5ELi4EEEaNS5_IJPKaEEEaS8_S8_S9_NSB_INS5_IJSE_SG_SI_SI_SG_SG_SK_SK_SG_SN_SN_SP_SP_SR_SG_SG_NSQ_INS5_IJiNS_17integral_constantIiLi128EEEEEELb0EEENSF_INS27_IiLi4EEEEEEEENS5_IJSU_SV_SW_SX_SY_SZ_S10_S11_S12_S13_S14_S15_S16_S17_S18_NST_IJLi19EEEES1G_NST_IJLi20EEEEEEENS5_IJS1A_SZ_S10_S11_S12_S1B_S1C_S1D_S1E_S15_S16_S18_S17_S1F_S1G_NST_IJLi22EEEENST_IJLi23ELi24EEEENST_IJLi25EEEEEEENST_IJLi22ELi23ELi24ELi25EEEElEENSB_INS5_IJSR_SP_SP_SR_SG_SG_S2A_S2C_EEENS5_IJSU_SV_SW_SY_SX_SZ_S11_S10_EEENS5_IJS1M_SX_SY_S1N_S11_S12_NST_IJLi9ELi10EEEENST_IJLi11EEEEEEENST_IJLi8ELi9ELi10ELi11EEEElEENS5_IJNSB_INS5_IJSK_SP_SP_NSQ_INS5_IJiNS27_IiLi2EEENS27_IiLi64EEEEEELb0EEES2X_EEENS5_IJSU_SV_SW_SX_SY_EEENS5_IJS1M_SX_SY_NST_IJLi5ELi6ELi7EEEENST_IJLi8ELi9ELi10EEEEEEENST_IJLi5ELi6ELi7ELi8ELi9ELi10EEEElEEEEES34_NS_31BlockToCTileMap_M00_N00_M01_N01ILi128ELi128ES1V_Lb0EEENS1_30ComputePtrOffsetOfStridedBatchILi1ELi1ELi1EvEELb0ELb0EEEvPKT0_S3C_T1_PT2_T3_T4_T5_iT6_T7_T8_T9_T10_T11_,"axG",@progbits,_ZN2ck16tensor_operation6device12_GLOBAL__N_137kernel_grouped_conv_fwd_dl_multiple_dINS_32GridwiseGemmDlMultipleD_km_kn_mnILi256EaiNS_5TupleIJaEEEaNS0_12element_wise11PassThroughES8_NS7_7AddReluELNS_25InMemoryDataOperationEnumE0ENS_16TensorDescriptorINS5_IJNS_5EmbedINS5_IJiiiiEEESD_Lb0EEENS_11PassThroughIiEENS_3PadIiiiLb0EEESI_SG_SG_NSC_INS5_IJiiEEESJ_Lb0EEESK_SG_NS_23Merge_v2_magic_divisionINS5_IJiiiEEEEESN_NS_8RightPadIiiLb0EEESP_NS_7UnMergeISJ_Lb0EEESG_EEENS5_IJNS_8SequenceIJLi0EEEENST_IJLi1EEEENST_IJLi2EEEENST_IJLi3EEEENST_IJLi4EEEENST_IJLi5EEEENST_IJLi6EEEENST_IJLi7EEEENST_IJLi8EEEENST_IJLi9ELi11ELi13EEEENST_IJLi10ELi12ELi14EEEENST_IJLi15EEEENST_IJLi16EEEENST_IJLi18EEEENST_IJLi17EEEEEEENS5_IJNST_IJLi1ELi2ELi3ELi4EEEESZ_S10_S11_S12_NST_IJLi9EEEENST_IJLi10ELi11EEEENST_IJLi12ELi13EEEENST_IJLi14EEEES15_S16_S18_S17_NST_IJLi19ELi20EEEENST_IJLi21EEEEEEENST_IJLi19ELi21ELi20EEEElEENSB_INS5_IJSR_SP_SP_SR_SG_EEENS5_IJSU_SV_SW_SY_SX_EEENS5_IJNST_IJLi1ELi2EEEESX_SY_NST_IJLi5ELi6EEEES11_EEENST_IJLi5ELi7ELi6EEEElEENSB_INS5_IJSK_SP_SP_EEENS5_IJSU_SV_SW_EEENS5_IJS1M_SX_SY_EEENST_IJLi3ELi4EEEElEELi128ELi128ELi16ELi4ELi4ELi4ELi1ENST_IJLi8ELi2EEEES1W_NST_IJLi8ELi1ELi1ELi4EEEENST_IJLi2ELi1ELi128ELi1EEEENST_IJLi1ELi2ELi0ELi3EEEES1Z_NST_IJLi4ELi1ELi1ELi4EEEES1Z_NST_IJLi1ELi1ELi1ELi4EEEES1X_S1Y_S1Z_S1Z_S20_S1Z_S21_NST_IJLi0ELi1ELi2ELi3ELi4ELi5EEEELi5ELi4EEEaNS5_IJPKaEEEaS8_S8_S9_NSB_INS5_IJSE_SG_SI_SI_SG_SG_SK_SK_SG_SN_SN_SP_SP_SR_SG_SG_NSQ_INS5_IJiNS_17integral_constantIiLi128EEEEEELb0EEENSF_INS27_IiLi4EEEEEEEENS5_IJSU_SV_SW_SX_SY_SZ_S10_S11_S12_S13_S14_S15_S16_S17_S18_NST_IJLi19EEEES1G_NST_IJLi20EEEEEEENS5_IJS1A_SZ_S10_S11_S12_S1B_S1C_S1D_S1E_S15_S16_S18_S17_S1F_S1G_NST_IJLi22EEEENST_IJLi23ELi24EEEENST_IJLi25EEEEEEENST_IJLi22ELi23ELi24ELi25EEEElEENSB_INS5_IJSR_SP_SP_SR_SG_SG_S2A_S2C_EEENS5_IJSU_SV_SW_SY_SX_SZ_S11_S10_EEENS5_IJS1M_SX_SY_S1N_S11_S12_NST_IJLi9ELi10EEEENST_IJLi11EEEEEEENST_IJLi8ELi9ELi10ELi11EEEElEENS5_IJNSB_INS5_IJSK_SP_SP_NSQ_INS5_IJiNS27_IiLi2EEENS27_IiLi64EEEEEELb0EEES2X_EEENS5_IJSU_SV_SW_SX_SY_EEENS5_IJS1M_SX_SY_NST_IJLi5ELi6ELi7EEEENST_IJLi8ELi9ELi10EEEEEEENST_IJLi5ELi6ELi7ELi8ELi9ELi10EEEElEEEEES34_NS_31BlockToCTileMap_M00_N00_M01_N01ILi128ELi128ES1V_Lb0EEENS1_30ComputePtrOffsetOfStridedBatchILi1ELi1ELi1EvEELb0ELb0EEEvPKT0_S3C_T1_PT2_T3_T4_T5_iT6_T7_T8_T9_T10_T11_,comdat
	.globl	_ZN2ck16tensor_operation6device12_GLOBAL__N_137kernel_grouped_conv_fwd_dl_multiple_dINS_32GridwiseGemmDlMultipleD_km_kn_mnILi256EaiNS_5TupleIJaEEEaNS0_12element_wise11PassThroughES8_NS7_7AddReluELNS_25InMemoryDataOperationEnumE0ENS_16TensorDescriptorINS5_IJNS_5EmbedINS5_IJiiiiEEESD_Lb0EEENS_11PassThroughIiEENS_3PadIiiiLb0EEESI_SG_SG_NSC_INS5_IJiiEEESJ_Lb0EEESK_SG_NS_23Merge_v2_magic_divisionINS5_IJiiiEEEEESN_NS_8RightPadIiiLb0EEESP_NS_7UnMergeISJ_Lb0EEESG_EEENS5_IJNS_8SequenceIJLi0EEEENST_IJLi1EEEENST_IJLi2EEEENST_IJLi3EEEENST_IJLi4EEEENST_IJLi5EEEENST_IJLi6EEEENST_IJLi7EEEENST_IJLi8EEEENST_IJLi9ELi11ELi13EEEENST_IJLi10ELi12ELi14EEEENST_IJLi15EEEENST_IJLi16EEEENST_IJLi18EEEENST_IJLi17EEEEEEENS5_IJNST_IJLi1ELi2ELi3ELi4EEEESZ_S10_S11_S12_NST_IJLi9EEEENST_IJLi10ELi11EEEENST_IJLi12ELi13EEEENST_IJLi14EEEES15_S16_S18_S17_NST_IJLi19ELi20EEEENST_IJLi21EEEEEEENST_IJLi19ELi21ELi20EEEElEENSB_INS5_IJSR_SP_SP_SR_SG_EEENS5_IJSU_SV_SW_SY_SX_EEENS5_IJNST_IJLi1ELi2EEEESX_SY_NST_IJLi5ELi6EEEES11_EEENST_IJLi5ELi7ELi6EEEElEENSB_INS5_IJSK_SP_SP_EEENS5_IJSU_SV_SW_EEENS5_IJS1M_SX_SY_EEENST_IJLi3ELi4EEEElEELi128ELi128ELi16ELi4ELi4ELi4ELi1ENST_IJLi8ELi2EEEES1W_NST_IJLi8ELi1ELi1ELi4EEEENST_IJLi2ELi1ELi128ELi1EEEENST_IJLi1ELi2ELi0ELi3EEEES1Z_NST_IJLi4ELi1ELi1ELi4EEEES1Z_NST_IJLi1ELi1ELi1ELi4EEEES1X_S1Y_S1Z_S1Z_S20_S1Z_S21_NST_IJLi0ELi1ELi2ELi3ELi4ELi5EEEELi5ELi4EEEaNS5_IJPKaEEEaS8_S8_S9_NSB_INS5_IJSE_SG_SI_SI_SG_SG_SK_SK_SG_SN_SN_SP_SP_SR_SG_SG_NSQ_INS5_IJiNS_17integral_constantIiLi128EEEEEELb0EEENSF_INS27_IiLi4EEEEEEEENS5_IJSU_SV_SW_SX_SY_SZ_S10_S11_S12_S13_S14_S15_S16_S17_S18_NST_IJLi19EEEES1G_NST_IJLi20EEEEEEENS5_IJS1A_SZ_S10_S11_S12_S1B_S1C_S1D_S1E_S15_S16_S18_S17_S1F_S1G_NST_IJLi22EEEENST_IJLi23ELi24EEEENST_IJLi25EEEEEEENST_IJLi22ELi23ELi24ELi25EEEElEENSB_INS5_IJSR_SP_SP_SR_SG_SG_S2A_S2C_EEENS5_IJSU_SV_SW_SY_SX_SZ_S11_S10_EEENS5_IJS1M_SX_SY_S1N_S11_S12_NST_IJLi9ELi10EEEENST_IJLi11EEEEEEENST_IJLi8ELi9ELi10ELi11EEEElEENS5_IJNSB_INS5_IJSK_SP_SP_NSQ_INS5_IJiNS27_IiLi2EEENS27_IiLi64EEEEEELb0EEES2X_EEENS5_IJSU_SV_SW_SX_SY_EEENS5_IJS1M_SX_SY_NST_IJLi5ELi6ELi7EEEENST_IJLi8ELi9ELi10EEEEEEENST_IJLi5ELi6ELi7ELi8ELi9ELi10EEEElEEEEES34_NS_31BlockToCTileMap_M00_N00_M01_N01ILi128ELi128ES1V_Lb0EEENS1_30ComputePtrOffsetOfStridedBatchILi1ELi1ELi1EvEELb0ELb0EEEvPKT0_S3C_T1_PT2_T3_T4_T5_iT6_T7_T8_T9_T10_T11_ ; -- Begin function _ZN2ck16tensor_operation6device12_GLOBAL__N_137kernel_grouped_conv_fwd_dl_multiple_dINS_32GridwiseGemmDlMultipleD_km_kn_mnILi256EaiNS_5TupleIJaEEEaNS0_12element_wise11PassThroughES8_NS7_7AddReluELNS_25InMemoryDataOperationEnumE0ENS_16TensorDescriptorINS5_IJNS_5EmbedINS5_IJiiiiEEESD_Lb0EEENS_11PassThroughIiEENS_3PadIiiiLb0EEESI_SG_SG_NSC_INS5_IJiiEEESJ_Lb0EEESK_SG_NS_23Merge_v2_magic_divisionINS5_IJiiiEEEEESN_NS_8RightPadIiiLb0EEESP_NS_7UnMergeISJ_Lb0EEESG_EEENS5_IJNS_8SequenceIJLi0EEEENST_IJLi1EEEENST_IJLi2EEEENST_IJLi3EEEENST_IJLi4EEEENST_IJLi5EEEENST_IJLi6EEEENST_IJLi7EEEENST_IJLi8EEEENST_IJLi9ELi11ELi13EEEENST_IJLi10ELi12ELi14EEEENST_IJLi15EEEENST_IJLi16EEEENST_IJLi18EEEENST_IJLi17EEEEEEENS5_IJNST_IJLi1ELi2ELi3ELi4EEEESZ_S10_S11_S12_NST_IJLi9EEEENST_IJLi10ELi11EEEENST_IJLi12ELi13EEEENST_IJLi14EEEES15_S16_S18_S17_NST_IJLi19ELi20EEEENST_IJLi21EEEEEEENST_IJLi19ELi21ELi20EEEElEENSB_INS5_IJSR_SP_SP_SR_SG_EEENS5_IJSU_SV_SW_SY_SX_EEENS5_IJNST_IJLi1ELi2EEEESX_SY_NST_IJLi5ELi6EEEES11_EEENST_IJLi5ELi7ELi6EEEElEENSB_INS5_IJSK_SP_SP_EEENS5_IJSU_SV_SW_EEENS5_IJS1M_SX_SY_EEENST_IJLi3ELi4EEEElEELi128ELi128ELi16ELi4ELi4ELi4ELi1ENST_IJLi8ELi2EEEES1W_NST_IJLi8ELi1ELi1ELi4EEEENST_IJLi2ELi1ELi128ELi1EEEENST_IJLi1ELi2ELi0ELi3EEEES1Z_NST_IJLi4ELi1ELi1ELi4EEEES1Z_NST_IJLi1ELi1ELi1ELi4EEEES1X_S1Y_S1Z_S1Z_S20_S1Z_S21_NST_IJLi0ELi1ELi2ELi3ELi4ELi5EEEELi5ELi4EEEaNS5_IJPKaEEEaS8_S8_S9_NSB_INS5_IJSE_SG_SI_SI_SG_SG_SK_SK_SG_SN_SN_SP_SP_SR_SG_SG_NSQ_INS5_IJiNS_17integral_constantIiLi128EEEEEELb0EEENSF_INS27_IiLi4EEEEEEEENS5_IJSU_SV_SW_SX_SY_SZ_S10_S11_S12_S13_S14_S15_S16_S17_S18_NST_IJLi19EEEES1G_NST_IJLi20EEEEEEENS5_IJS1A_SZ_S10_S11_S12_S1B_S1C_S1D_S1E_S15_S16_S18_S17_S1F_S1G_NST_IJLi22EEEENST_IJLi23ELi24EEEENST_IJLi25EEEEEEENST_IJLi22ELi23ELi24ELi25EEEElEENSB_INS5_IJSR_SP_SP_SR_SG_SG_S2A_S2C_EEENS5_IJSU_SV_SW_SY_SX_SZ_S11_S10_EEENS5_IJS1M_SX_SY_S1N_S11_S12_NST_IJLi9ELi10EEEENST_IJLi11EEEEEEENST_IJLi8ELi9ELi10ELi11EEEElEENS5_IJNSB_INS5_IJSK_SP_SP_NSQ_INS5_IJiNS27_IiLi2EEENS27_IiLi64EEEEEELb0EEES2X_EEENS5_IJSU_SV_SW_SX_SY_EEENS5_IJS1M_SX_SY_NST_IJLi5ELi6ELi7EEEENST_IJLi8ELi9ELi10EEEEEEENST_IJLi5ELi6ELi7ELi8ELi9ELi10EEEElEEEEES34_NS_31BlockToCTileMap_M00_N00_M01_N01ILi128ELi128ES1V_Lb0EEENS1_30ComputePtrOffsetOfStridedBatchILi1ELi1ELi1EvEELb0ELb0EEEvPKT0_S3C_T1_PT2_T3_T4_T5_iT6_T7_T8_T9_T10_T11_
	.p2align	8
	.type	_ZN2ck16tensor_operation6device12_GLOBAL__N_137kernel_grouped_conv_fwd_dl_multiple_dINS_32GridwiseGemmDlMultipleD_km_kn_mnILi256EaiNS_5TupleIJaEEEaNS0_12element_wise11PassThroughES8_NS7_7AddReluELNS_25InMemoryDataOperationEnumE0ENS_16TensorDescriptorINS5_IJNS_5EmbedINS5_IJiiiiEEESD_Lb0EEENS_11PassThroughIiEENS_3PadIiiiLb0EEESI_SG_SG_NSC_INS5_IJiiEEESJ_Lb0EEESK_SG_NS_23Merge_v2_magic_divisionINS5_IJiiiEEEEESN_NS_8RightPadIiiLb0EEESP_NS_7UnMergeISJ_Lb0EEESG_EEENS5_IJNS_8SequenceIJLi0EEEENST_IJLi1EEEENST_IJLi2EEEENST_IJLi3EEEENST_IJLi4EEEENST_IJLi5EEEENST_IJLi6EEEENST_IJLi7EEEENST_IJLi8EEEENST_IJLi9ELi11ELi13EEEENST_IJLi10ELi12ELi14EEEENST_IJLi15EEEENST_IJLi16EEEENST_IJLi18EEEENST_IJLi17EEEEEEENS5_IJNST_IJLi1ELi2ELi3ELi4EEEESZ_S10_S11_S12_NST_IJLi9EEEENST_IJLi10ELi11EEEENST_IJLi12ELi13EEEENST_IJLi14EEEES15_S16_S18_S17_NST_IJLi19ELi20EEEENST_IJLi21EEEEEEENST_IJLi19ELi21ELi20EEEElEENSB_INS5_IJSR_SP_SP_SR_SG_EEENS5_IJSU_SV_SW_SY_SX_EEENS5_IJNST_IJLi1ELi2EEEESX_SY_NST_IJLi5ELi6EEEES11_EEENST_IJLi5ELi7ELi6EEEElEENSB_INS5_IJSK_SP_SP_EEENS5_IJSU_SV_SW_EEENS5_IJS1M_SX_SY_EEENST_IJLi3ELi4EEEElEELi128ELi128ELi16ELi4ELi4ELi4ELi1ENST_IJLi8ELi2EEEES1W_NST_IJLi8ELi1ELi1ELi4EEEENST_IJLi2ELi1ELi128ELi1EEEENST_IJLi1ELi2ELi0ELi3EEEES1Z_NST_IJLi4ELi1ELi1ELi4EEEES1Z_NST_IJLi1ELi1ELi1ELi4EEEES1X_S1Y_S1Z_S1Z_S20_S1Z_S21_NST_IJLi0ELi1ELi2ELi3ELi4ELi5EEEELi5ELi4EEEaNS5_IJPKaEEEaS8_S8_S9_NSB_INS5_IJSE_SG_SI_SI_SG_SG_SK_SK_SG_SN_SN_SP_SP_SR_SG_SG_NSQ_INS5_IJiNS_17integral_constantIiLi128EEEEEELb0EEENSF_INS27_IiLi4EEEEEEEENS5_IJSU_SV_SW_SX_SY_SZ_S10_S11_S12_S13_S14_S15_S16_S17_S18_NST_IJLi19EEEES1G_NST_IJLi20EEEEEEENS5_IJS1A_SZ_S10_S11_S12_S1B_S1C_S1D_S1E_S15_S16_S18_S17_S1F_S1G_NST_IJLi22EEEENST_IJLi23ELi24EEEENST_IJLi25EEEEEEENST_IJLi22ELi23ELi24ELi25EEEElEENSB_INS5_IJSR_SP_SP_SR_SG_SG_S2A_S2C_EEENS5_IJSU_SV_SW_SY_SX_SZ_S11_S10_EEENS5_IJS1M_SX_SY_S1N_S11_S12_NST_IJLi9ELi10EEEENST_IJLi11EEEEEEENST_IJLi8ELi9ELi10ELi11EEEElEENS5_IJNSB_INS5_IJSK_SP_SP_NSQ_INS5_IJiNS27_IiLi2EEENS27_IiLi64EEEEEELb0EEES2X_EEENS5_IJSU_SV_SW_SX_SY_EEENS5_IJS1M_SX_SY_NST_IJLi5ELi6ELi7EEEENST_IJLi8ELi9ELi10EEEEEEENST_IJLi5ELi6ELi7ELi8ELi9ELi10EEEElEEEEES34_NS_31BlockToCTileMap_M00_N00_M01_N01ILi128ELi128ES1V_Lb0EEENS1_30ComputePtrOffsetOfStridedBatchILi1ELi1ELi1EvEELb0ELb0EEEvPKT0_S3C_T1_PT2_T3_T4_T5_iT6_T7_T8_T9_T10_T11_,@function
_ZN2ck16tensor_operation6device12_GLOBAL__N_137kernel_grouped_conv_fwd_dl_multiple_dINS_32GridwiseGemmDlMultipleD_km_kn_mnILi256EaiNS_5TupleIJaEEEaNS0_12element_wise11PassThroughES8_NS7_7AddReluELNS_25InMemoryDataOperationEnumE0ENS_16TensorDescriptorINS5_IJNS_5EmbedINS5_IJiiiiEEESD_Lb0EEENS_11PassThroughIiEENS_3PadIiiiLb0EEESI_SG_SG_NSC_INS5_IJiiEEESJ_Lb0EEESK_SG_NS_23Merge_v2_magic_divisionINS5_IJiiiEEEEESN_NS_8RightPadIiiLb0EEESP_NS_7UnMergeISJ_Lb0EEESG_EEENS5_IJNS_8SequenceIJLi0EEEENST_IJLi1EEEENST_IJLi2EEEENST_IJLi3EEEENST_IJLi4EEEENST_IJLi5EEEENST_IJLi6EEEENST_IJLi7EEEENST_IJLi8EEEENST_IJLi9ELi11ELi13EEEENST_IJLi10ELi12ELi14EEEENST_IJLi15EEEENST_IJLi16EEEENST_IJLi18EEEENST_IJLi17EEEEEEENS5_IJNST_IJLi1ELi2ELi3ELi4EEEESZ_S10_S11_S12_NST_IJLi9EEEENST_IJLi10ELi11EEEENST_IJLi12ELi13EEEENST_IJLi14EEEES15_S16_S18_S17_NST_IJLi19ELi20EEEENST_IJLi21EEEEEEENST_IJLi19ELi21ELi20EEEElEENSB_INS5_IJSR_SP_SP_SR_SG_EEENS5_IJSU_SV_SW_SY_SX_EEENS5_IJNST_IJLi1ELi2EEEESX_SY_NST_IJLi5ELi6EEEES11_EEENST_IJLi5ELi7ELi6EEEElEENSB_INS5_IJSK_SP_SP_EEENS5_IJSU_SV_SW_EEENS5_IJS1M_SX_SY_EEENST_IJLi3ELi4EEEElEELi128ELi128ELi16ELi4ELi4ELi4ELi1ENST_IJLi8ELi2EEEES1W_NST_IJLi8ELi1ELi1ELi4EEEENST_IJLi2ELi1ELi128ELi1EEEENST_IJLi1ELi2ELi0ELi3EEEES1Z_NST_IJLi4ELi1ELi1ELi4EEEES1Z_NST_IJLi1ELi1ELi1ELi4EEEES1X_S1Y_S1Z_S1Z_S20_S1Z_S21_NST_IJLi0ELi1ELi2ELi3ELi4ELi5EEEELi5ELi4EEEaNS5_IJPKaEEEaS8_S8_S9_NSB_INS5_IJSE_SG_SI_SI_SG_SG_SK_SK_SG_SN_SN_SP_SP_SR_SG_SG_NSQ_INS5_IJiNS_17integral_constantIiLi128EEEEEELb0EEENSF_INS27_IiLi4EEEEEEEENS5_IJSU_SV_SW_SX_SY_SZ_S10_S11_S12_S13_S14_S15_S16_S17_S18_NST_IJLi19EEEES1G_NST_IJLi20EEEEEEENS5_IJS1A_SZ_S10_S11_S12_S1B_S1C_S1D_S1E_S15_S16_S18_S17_S1F_S1G_NST_IJLi22EEEENST_IJLi23ELi24EEEENST_IJLi25EEEEEEENST_IJLi22ELi23ELi24ELi25EEEElEENSB_INS5_IJSR_SP_SP_SR_SG_SG_S2A_S2C_EEENS5_IJSU_SV_SW_SY_SX_SZ_S11_S10_EEENS5_IJS1M_SX_SY_S1N_S11_S12_NST_IJLi9ELi10EEEENST_IJLi11EEEEEEENST_IJLi8ELi9ELi10ELi11EEEElEENS5_IJNSB_INS5_IJSK_SP_SP_NSQ_INS5_IJiNS27_IiLi2EEENS27_IiLi64EEEEEELb0EEES2X_EEENS5_IJSU_SV_SW_SX_SY_EEENS5_IJS1M_SX_SY_NST_IJLi5ELi6ELi7EEEENST_IJLi8ELi9ELi10EEEEEEENST_IJLi5ELi6ELi7ELi8ELi9ELi10EEEElEEEEES34_NS_31BlockToCTileMap_M00_N00_M01_N01ILi128ELi128ES1V_Lb0EEENS1_30ComputePtrOffsetOfStridedBatchILi1ELi1ELi1EvEELb0ELb0EEEvPKT0_S3C_T1_PT2_T3_T4_T5_iT6_T7_T8_T9_T10_T11_: ; @_ZN2ck16tensor_operation6device12_GLOBAL__N_137kernel_grouped_conv_fwd_dl_multiple_dINS_32GridwiseGemmDlMultipleD_km_kn_mnILi256EaiNS_5TupleIJaEEEaNS0_12element_wise11PassThroughES8_NS7_7AddReluELNS_25InMemoryDataOperationEnumE0ENS_16TensorDescriptorINS5_IJNS_5EmbedINS5_IJiiiiEEESD_Lb0EEENS_11PassThroughIiEENS_3PadIiiiLb0EEESI_SG_SG_NSC_INS5_IJiiEEESJ_Lb0EEESK_SG_NS_23Merge_v2_magic_divisionINS5_IJiiiEEEEESN_NS_8RightPadIiiLb0EEESP_NS_7UnMergeISJ_Lb0EEESG_EEENS5_IJNS_8SequenceIJLi0EEEENST_IJLi1EEEENST_IJLi2EEEENST_IJLi3EEEENST_IJLi4EEEENST_IJLi5EEEENST_IJLi6EEEENST_IJLi7EEEENST_IJLi8EEEENST_IJLi9ELi11ELi13EEEENST_IJLi10ELi12ELi14EEEENST_IJLi15EEEENST_IJLi16EEEENST_IJLi18EEEENST_IJLi17EEEEEEENS5_IJNST_IJLi1ELi2ELi3ELi4EEEESZ_S10_S11_S12_NST_IJLi9EEEENST_IJLi10ELi11EEEENST_IJLi12ELi13EEEENST_IJLi14EEEES15_S16_S18_S17_NST_IJLi19ELi20EEEENST_IJLi21EEEEEEENST_IJLi19ELi21ELi20EEEElEENSB_INS5_IJSR_SP_SP_SR_SG_EEENS5_IJSU_SV_SW_SY_SX_EEENS5_IJNST_IJLi1ELi2EEEESX_SY_NST_IJLi5ELi6EEEES11_EEENST_IJLi5ELi7ELi6EEEElEENSB_INS5_IJSK_SP_SP_EEENS5_IJSU_SV_SW_EEENS5_IJS1M_SX_SY_EEENST_IJLi3ELi4EEEElEELi128ELi128ELi16ELi4ELi4ELi4ELi1ENST_IJLi8ELi2EEEES1W_NST_IJLi8ELi1ELi1ELi4EEEENST_IJLi2ELi1ELi128ELi1EEEENST_IJLi1ELi2ELi0ELi3EEEES1Z_NST_IJLi4ELi1ELi1ELi4EEEES1Z_NST_IJLi1ELi1ELi1ELi4EEEES1X_S1Y_S1Z_S1Z_S20_S1Z_S21_NST_IJLi0ELi1ELi2ELi3ELi4ELi5EEEELi5ELi4EEEaNS5_IJPKaEEEaS8_S8_S9_NSB_INS5_IJSE_SG_SI_SI_SG_SG_SK_SK_SG_SN_SN_SP_SP_SR_SG_SG_NSQ_INS5_IJiNS_17integral_constantIiLi128EEEEEELb0EEENSF_INS27_IiLi4EEEEEEEENS5_IJSU_SV_SW_SX_SY_SZ_S10_S11_S12_S13_S14_S15_S16_S17_S18_NST_IJLi19EEEES1G_NST_IJLi20EEEEEEENS5_IJS1A_SZ_S10_S11_S12_S1B_S1C_S1D_S1E_S15_S16_S18_S17_S1F_S1G_NST_IJLi22EEEENST_IJLi23ELi24EEEENST_IJLi25EEEEEEENST_IJLi22ELi23ELi24ELi25EEEElEENSB_INS5_IJSR_SP_SP_SR_SG_SG_S2A_S2C_EEENS5_IJSU_SV_SW_SY_SX_SZ_S11_S10_EEENS5_IJS1M_SX_SY_S1N_S11_S12_NST_IJLi9ELi10EEEENST_IJLi11EEEEEEENST_IJLi8ELi9ELi10ELi11EEEElEENS5_IJNSB_INS5_IJSK_SP_SP_NSQ_INS5_IJiNS27_IiLi2EEENS27_IiLi64EEEEEELb0EEES2X_EEENS5_IJSU_SV_SW_SX_SY_EEENS5_IJS1M_SX_SY_NST_IJLi5ELi6ELi7EEEENST_IJLi8ELi9ELi10EEEEEEENST_IJLi5ELi6ELi7ELi8ELi9ELi10EEEElEEEEES34_NS_31BlockToCTileMap_M00_N00_M01_N01ILi128ELi128ES1V_Lb0EEENS1_30ComputePtrOffsetOfStridedBatchILi1ELi1ELi1EvEELb0ELb0EEEvPKT0_S3C_T1_PT2_T3_T4_T5_iT6_T7_T8_T9_T10_T11_
; %bb.0:
	s_clause 0x2
	s_load_b32 s3, s[0:1], 0x24
	s_load_b128 s[28:31], s[0:1], 0x38
	s_load_b32 s4, s[0:1], 0x2c8
	s_mov_b64 s[12:13], src_shared_base
	s_mov_b32 s48, 0
	s_clause 0x1
	s_load_b128 s[40:43], s[0:1], 0x4c
	s_load_b64 s[64:65], s[0:1], 0x5c
	s_mov_b32 s51, s48
	s_mov_b32 s49, s48
	;; [unrolled: 1-line block ×3, first 2 shown]
	v_mov_b32_e32 v22, s13
	v_lshrrev_b32_e32 v26, 1, v0
	v_lshrrev_b32_e32 v11, 5, v0
	s_movk_i32 s32, 0x1c0
	v_dual_mov_b32 v34, 0 :: v_dual_lshlrev_b32 v7, 3, v0
	v_lshlrev_b32_e32 v13, 1, v0
	s_delay_alu instid0(VALU_DEP_2)
	v_dual_mov_b32 v9, v34 :: v_dual_lshlrev_b32 v0, 2, v0
	v_mov_b32_e32 v36, v34
	s_waitcnt lgkmcnt(0)
	s_abs_i32 s2, s3
	v_dual_mov_b32 v8, v34 :: v_dual_and_b32 v27, 8, v7
	v_cvt_f32_u32_e32 v1, s2
	s_sub_i32 s6, 0, s2
	s_abs_i32 s7, s4
	s_xor_b32 s3, s4, s3
	v_mov_b32_e32 v6, v34
	v_rcp_iflag_f32_e32 v1, v1
	s_ashr_i32 s14, s3, 31
	v_dual_mov_b32 v10, v34 :: v_dual_lshlrev_b32 v7, 6, v11
	v_dual_mov_b32 v12, v34 :: v_dual_and_b32 v15, 0x1f8, v13
	v_dual_mov_b32 v16, v34 :: v_dual_and_b32 v13, 0x1fc, v13
	v_or_b32_e32 v19, 4, v27
	s_waitcnt_depctr 0xfff
	v_mul_f32_e32 v1, 0x4f7ffffe, v1
	s_delay_alu instid0(VALU_DEP_1) | instskip(NEXT) | instid1(VALU_DEP_1)
	v_cvt_u32_f32_e32 v1, v1
	v_readfirstlane_b32 s5, v1
	s_delay_alu instid0(VALU_DEP_1) | instskip(NEXT) | instid1(SALU_CYCLE_1)
	s_mul_i32 s6, s6, s5
	s_mul_hi_u32 s6, s5, s6
	s_delay_alu instid0(SALU_CYCLE_1) | instskip(NEXT) | instid1(SALU_CYCLE_1)
	s_add_i32 s5, s5, s6
	s_mul_hi_u32 s5, s7, s5
	s_delay_alu instid0(SALU_CYCLE_1) | instskip(NEXT) | instid1(SALU_CYCLE_1)
	s_mul_i32 s4, s5, s2
	s_sub_i32 s3, s7, s4
	s_add_i32 s4, s5, 1
	s_sub_i32 s6, s3, s2
	s_cmp_ge_u32 s3, s2
	s_cselect_b32 s12, s4, s5
	s_cselect_b32 s3, s6, s3
	s_add_i32 s16, s12, 1
	s_cmp_ge_u32 s3, s2
	s_load_b256 s[4:11], s[0:1], 0x0
	s_cselect_b32 s2, s16, s12
	s_abs_i32 s36, s15
	s_xor_b32 s12, s2, s14
	s_clause 0x3
	s_load_b64 s[2:3], s[0:1], 0x74
	s_load_b64 s[66:67], s[0:1], 0x84
	;; [unrolled: 1-line block ×4, first 2 shown]
	s_sub_i32 s12, s12, s14
	s_clause 0x3
	s_load_b64 s[74:75], s[0:1], 0xac
	s_load_b64 s[68:69], s[0:1], 0xbc
	;; [unrolled: 1-line block ×4, first 2 shown]
	s_abs_i32 s24, s12
	s_clause 0x5
	s_load_b32 s81, s[0:1], 0x100
	s_load_b32 s26, s[0:1], 0x128
	;; [unrolled: 1-line block ×6, first 2 shown]
	v_cvt_f32_u32_e32 v1, s24
	s_sub_i32 s25, 0, s24
	s_clause 0xa
	s_load_b32 s46, s[0:1], 0x188
	s_load_b64 s[34:35], s[0:1], 0x198
	s_load_b32 s33, s[0:1], 0x1a4
	s_load_b32 s80, s[0:1], 0x1b0
	;; [unrolled: 1-line block ×5, first 2 shown]
	s_load_b128 s[52:55], s[0:1], 0x260
	s_load_b128 s[60:63], s[0:1], 0x274
	;; [unrolled: 1-line block ×3, first 2 shown]
	s_load_b256 s[16:23], s[0:1], 0x2a0
	s_xor_b32 s12, s15, s12
	v_rcp_iflag_f32_e32 v5, v1
	v_dual_mov_b32 v1, s48 :: v_dual_mov_b32 v4, s51
	s_ashr_i32 s12, s12, 31
	v_dual_mov_b32 v2, s49 :: v_dual_mov_b32 v3, s50
	s_waitcnt lgkmcnt(0)
	v_mul_lo_u32 v28, s81, v27
	s_waitcnt_depctr 0xfff
	v_mul_f32_e32 v5, 0x4f7ffffe, v5
	v_mul_lo_u32 v29, s81, v19
	s_clause 0x5
	scratch_store_b128 off, v[1:4], off offset:144
	scratch_store_b128 off, v[1:4], off offset:160
	;; [unrolled: 1-line block ×6, first 2 shown]
	v_cvt_u32_f32_e32 v5, v5
	s_mul_hi_u32 s48, s63, s15
	s_clause 0x3
	scratch_store_b128 off, v[1:4], off offset:240
	scratch_store_b128 off, v[1:4], off offset:256
	;; [unrolled: 1-line block ×4, first 2 shown]
	v_mul_hi_u32 v19, v29, s77
	v_readfirstlane_b32 s13, v5
	v_mul_hi_u32 v5, v28, s77
	v_mov_b32_e32 v14, v34
	s_clause 0x3
	scratch_store_b128 off, v[1:4], off offset:304
	scratch_store_b128 off, v[1:4], off offset:320
	;; [unrolled: 1-line block ×4, first 2 shown]
	s_mul_i32 s25, s25, s13
	s_delay_alu instid0(SALU_CYCLE_1) | instskip(SKIP_2) | instid1(SALU_CYCLE_1)
	s_mul_hi_u32 s25, s13, s25
	v_add_nc_u32_e32 v5, v28, v5
	s_add_i32 s13, s13, s25
	s_mul_hi_u32 s13, s36, s13
	s_delay_alu instid0(SALU_CYCLE_1) | instskip(NEXT) | instid1(VALU_DEP_1)
	s_mul_i32 s25, s13, s24
	v_lshrrev_b32_e32 v23, s71, v5
	s_sub_i32 s25, s36, s25
	s_add_i32 s36, s13, 1
	s_sub_i32 s37, s25, s24
	s_cmp_ge_u32 s25, s24
	v_sub_nc_u32_e32 v5, v15, v7
	s_cselect_b32 s13, s36, s13
	s_cselect_b32 s25, s37, s25
	s_add_i32 s36, s13, 1
	s_cmp_ge_u32 s25, s24
	v_sub_nc_u32_e32 v7, v13, v15
	s_cselect_b32 s13, s36, s13
	v_mul_hi_u32 v13, v23, s76
	s_xor_b32 s13, s13, s12
	v_mov_b32_e32 v18, v34
	s_sub_i32 s12, s13, s12
	v_lshl_add_u32 v35, v11, 3, v7
	s_ashr_i32 s13, s12, 31
	s_mul_hi_u32 s24, s16, s12
	s_mul_i32 s25, s16, s12
	v_add_nc_u32_e32 v11, v23, v13
	s_mul_hi_u32 s36, s18, s12
	s_mul_i32 s44, s18, s12
	s_mul_hi_u32 s37, s22, s12
	s_mul_i32 s49, s22, s12
	;; [unrolled: 2-line block ×3, first 2 shown]
	s_mul_i32 s18, s18, s13
	s_mul_i32 s22, s22, s13
	;; [unrolled: 1-line block ×8, first 2 shown]
	s_add_i32 s16, s24, s16
	s_add_i32 s18, s36, s18
	s_add_i32 s20, s37, s22
	s_add_i32 s13, s45, s13
	s_add_i32 s16, s16, s17
	s_add_i32 s18, s18, s19
	s_add_i32 s20, s20, s23
	s_add_i32 s13, s13, s21
	s_add_u32 s36, s8, s12
	s_addc_u32 s37, s9, s13
	s_add_u32 s24, s4, s25
	s_addc_u32 s25, s5, s16
	;; [unrolled: 2-line block ×4, first 2 shown]
	s_add_i32 s4, s15, s48
	v_and_or_b32 v37, v0, 4, v5
	s_lshr_b32 s4, s4, s59
	v_dual_mov_b32 v20, v34 :: v_dual_lshlrev_b32 v5, 2, v35
	s_mul_hi_u32 s5, s4, s62
	v_mov_b32_e32 v7, v35
	s_add_i32 s5, s4, s5
	v_lshrrev_b32_e32 v31, s70, v11
	s_lshr_b32 s5, s5, s58
	v_mov_b32_e32 v11, v35
	s_mul_hi_u32 s6, s5, s61
	s_mul_i32 s8, s5, s54
	s_add_i32 s6, s5, s6
	s_sub_i32 s8, s4, s8
	s_lshr_b32 s6, s6, s57
	s_clause 0x1
	scratch_store_b128 off, v[34:37], off offset:64
	scratch_store_b128 off, v[5:8], off offset:80
	s_mul_hi_u32 s7, s6, s60
	v_mul_lo_u32 v25, v31, s68
	s_add_i32 s7, s6, s7
	s_mul_i32 s4, s4, s55
	s_lshr_b32 s7, s7, s56
	s_sub_i32 s4, s15, s4
	s_mul_i32 s7, s7, s52
	v_mul_lo_u32 v8, v31, s2
	s_sub_i32 s7, s6, s7
	s_mul_i32 s6, s6, s53
	s_mul_i32 s7, s7, s82
	v_sub_nc_u32_e32 v5, v23, v25
	s_add_i32 s8, s8, s7
	s_sub_i32 s5, s5, s6
	s_lshl_b32 s18, s8, 7
	s_mul_i32 s5, s5, s83
	v_or_b32_e32 v30, s18, v26
	s_add_i32 s4, s4, s5
	v_mul_lo_u32 v0, s47, v27
	s_lshl_b32 s15, s4, 7
	v_mul_lo_u32 v38, v23, s69
	v_mul_hi_u32 v15, v30, s79
	s_lshl_b32 s4, s47, 2
	v_mov_b32_e32 v21, v34
	s_sub_i32 s9, s43, s65
	s_sub_i32 s11, s40, s42
	s_delay_alu instid0(VALU_DEP_3) | instskip(NEXT) | instid1(VALU_DEP_3)
	v_sub_nc_u32_e32 v6, v28, v38
	v_add_nc_u32_e32 v13, v30, v15
	v_add_nc_u32_e32 v15, v29, v19
	v_mov_b32_e32 v19, v37
	s_delay_alu instid0(VALU_DEP_3) | instskip(SKIP_1) | instid1(VALU_DEP_4)
	v_lshrrev_b32_e32 v24, s75, v13
	v_lshlrev_b32_e32 v13, 2, v37
	v_lshrrev_b32_e32 v32, s71, v15
	v_mov_b32_e32 v15, v37
	s_clause 0x1
	scratch_store_b128 off, v[9:12], off offset:96
	scratch_store_b128 off, v[13:16], off offset:112
	v_mul_hi_u32 v33, v24, s78
	v_mul_lo_u32 v9, v24, s73
	v_mul_hi_u32 v39, v32, s76
	v_mov_b32_e32 v17, v34
	s_delay_alu instid0(VALU_DEP_4) | instskip(NEXT) | instid1(VALU_DEP_4)
	v_add_nc_u32_e32 v7, v24, v33
	v_sub_nc_u32_e32 v9, v30, v9
	v_or_b32_e32 v33, s15, v26
	v_add_nc_u32_e32 v10, v32, v39
	s_delay_alu instid0(VALU_DEP_4) | instskip(SKIP_1) | instid1(VALU_DEP_4)
	v_lshrrev_b32_e32 v11, s74, v7
	v_mul_lo_u32 v7, v5, s66
	v_cmp_gt_i32_e64 s7, s14, v33
	s_delay_alu instid0(VALU_DEP_4) | instskip(NEXT) | instid1(VALU_DEP_4)
	v_lshrrev_b32_e32 v13, s70, v10
	v_mul_lo_u32 v12, v11, s72
	s_delay_alu instid0(VALU_DEP_1) | instskip(SKIP_1) | instid1(VALU_DEP_2)
	v_sub_nc_u32_e32 v12, v24, v12
	v_mad_u64_u32 v[23:24], null, v9, s67, v[7:8]
	v_mad_u64_u32 v[24:25], null, v12, s3, v[8:9]
	;; [unrolled: 1-line block ×3, first 2 shown]
	v_cmp_gt_i32_e64 s3, s39, v0
	v_add_nc_u32_e32 v0, s4, v0
	s_clause 0x1
	scratch_store_b128 off, v[17:20], off offset:128
	scratch_store_b64 off, v[21:22], off offset:400
	v_mul_lo_u32 v17, v11, s28
	v_mad_u64_u32 v[10:11], null, v13, s68, v[5:6]
	v_mad_u64_u32 v[11:12], null, v32, s69, v[6:7]
	v_mul_lo_u32 v9, v6, s31
	v_subrev_nc_u32_e32 v16, s64, v23
	v_subrev_nc_u32_e32 v14, s41, v24
	v_mov_b32_e32 v21, 0x4000
	v_sub_nc_u32_e32 v5, v32, v10
	v_sub_nc_u32_e32 v6, v13, v31
	;; [unrolled: 1-line block ×3, first 2 shown]
	s_clause 0x4
	scratch_store_b128 off, v[1:4], off offset:368
	scratch_store_b128 off, v[1:4], off offset:384
	scratch_store_b8 off, v34, off offset:409
	scratch_store_b64 off, v[21:22], off offset:416
	scratch_store_b8 off, v34, off offset:425
	v_mul_lo_u32 v21, v5, s66
	v_mul_lo_u32 v22, v6, s2
	;; [unrolled: 1-line block ×4, first 2 shown]
	v_mad_u64_u32 v[14:15], null, v16, s30, v[9:10]
	s_mov_b32 s27, 0x31004000
	v_add_nc_u32_e32 v11, s4, v7
	s_mov_b32 s47, s27
	v_mul_lo_u32 v19, v21, s30
	buffer_load_b128 v[5:8], v7, s[44:47], 0 offen
	v_cmp_le_i32_e64 s4, s64, v23
	buffer_load_b128 v[9:12], v11, s[44:47], 0 offen
	v_mad_u64_u32 v[15:16], null, v22, s29, v[13:14]
	v_add3_u32 v13, v14, v17, v18
	v_cmp_gt_i32_e64 s5, s9, v23
	v_add_nc_u32_e32 v21, v23, v21
	v_cmp_gt_i32_e64 s6, s39, v0
	v_add_nc_u32_e32 v0, v24, v22
	v_cmp_gt_i32_e64 s10, s11, v24
	v_add3_u32 v17, v15, v19, v13
	s_clause 0x1
	buffer_load_b128 v[13:16], v13, s[24:27], 0 offen
	buffer_load_b128 v[17:20], v17, s[24:27], 0 offen
	s_clause 0x1
	s_load_b32 s2, s[0:1], 0xf0
	s_load_b32 s8, s[0:1], 0xe4
	s_and_b32 s14, s4, s5
	v_cmp_le_i32_e64 s4, s64, v21
	v_cmp_gt_i32_e64 s5, s9, v21
	v_cmp_le_i32_e64 s9, s41, v24
	v_cmp_gt_i32_e64 s11, s11, v0
	v_lshlrev_b32_e32 v25, 2, v26
	s_delay_alu instid0(VALU_DEP_4) | instskip(NEXT) | instid1(VALU_DEP_3)
	s_and_b32 s4, s4, s5
	s_and_b32 s5, s9, s10
	s_delay_alu instid0(VALU_DEP_1)
	v_lshl_or_b32 v25, v27, 9, v25
	s_waitcnt lgkmcnt(0)
	v_cmp_gt_i32_e32 vcc_lo, s2, v28
	v_cmp_gt_i32_e64 s2, s2, v29
	v_cmp_gt_i32_e64 s8, s8, v30
	s_and_b32 s14, vcc_lo, s14
	v_cmp_le_i32_e32 vcc_lo, s41, v0
	s_delay_alu instid0(VALU_DEP_3)
	s_and_b32 s2, s2, s4
	s_and_b32 s4, s14, s5
	s_and_b32 s5, vcc_lo, s11
	s_and_b32 vcc_lo, s3, s7
	s_and_b32 s2, s2, s5
	s_waitcnt vmcnt(3)
	v_dual_cndmask_b32 v0, 0, v8 :: v_dual_cndmask_b32 v7, 0, v7
	v_dual_cndmask_b32 v6, 0, v6 :: v_dual_cndmask_b32 v5, 0, v5
	s_and_b32 vcc_lo, s6, s7
	s_waitcnt vmcnt(2)
	v_dual_cndmask_b32 v9, 0, v9 :: v_dual_cndmask_b32 v10, 0, v10
	s_delay_alu instid0(VALU_DEP_2) | instskip(SKIP_2) | instid1(VALU_DEP_4)
	v_perm_b32 v5, v5, v5, 0x3020104
	v_perm_b32 v7, v7, v7, 0x3020104
	v_cndmask_b32_e32 v11, 0, v11, vcc_lo
	v_perm_b32 v9, v9, v9, 0x3020104
	v_cndmask_b32_e32 v8, 0, v12, vcc_lo
	s_and_b32 vcc_lo, s8, s4
	ds_store_2addr_stride64_b32 v25, v5, v6 offset0:64 offset1:66
	ds_store_2addr_stride64_b32 v25, v7, v0 offset0:68 offset1:70
	s_waitcnt vmcnt(1)
	v_cndmask_b32_e32 v5, 0, v16, vcc_lo
	ds_store_2addr_stride64_b32 v25, v9, v10 offset0:72 offset1:74
	v_dual_cndmask_b32 v6, 0, v15 :: v_dual_cndmask_b32 v7, 0, v14
	v_cndmask_b32_e32 v9, 0, v13, vcc_lo
	s_and_b32 vcc_lo, s8, s2
	v_perm_b32 v0, v11, v11, 0x3020104
	s_waitcnt vmcnt(0)
	v_dual_cndmask_b32 v11, 0, v17 :: v_dual_cndmask_b32 v12, 0, v19
	v_perm_b32 v9, v9, v9, 0x3020104
	v_perm_b32 v6, v6, v6, 0x3020104
	v_cndmask_b32_e32 v13, 0, v18, vcc_lo
	s_delay_alu instid0(VALU_DEP_4)
	v_perm_b32 v11, v11, v11, 0x3020104
	v_cndmask_b32_e32 v10, 0, v20, vcc_lo
	v_perm_b32 v12, v12, v12, 0x3020104
	ds_store_2addr_stride64_b32 v25, v0, v8 offset0:76 offset1:78
	ds_store_2addr_stride64_b32 v25, v9, v7 offset1:2
	ds_store_2addr_stride64_b32 v25, v6, v5 offset0:4 offset1:6
	ds_store_2addr_stride64_b32 v25, v11, v13 offset0:8 offset1:10
	;; [unrolled: 1-line block ×3, first 2 shown]
	s_waitcnt lgkmcnt(0)
	s_waitcnt_vscnt null, 0x0
	s_barrier
	buffer_gl0_inv
	s_clause 0x3
	scratch_load_b32 v0, off, off offset:80
	scratch_load_b64 v[5:6], off, off offset:400
	scratch_load_b32 v9, off, off offset:112
	scratch_load_b64 v[7:8], off, off offset:416
	s_clause 0x3
	scratch_store_b128 off, v[1:4], off
	scratch_store_b128 off, v[1:4], off offset:16
	scratch_store_b128 off, v[1:4], off offset:32
	;; [unrolled: 1-line block ×3, first 2 shown]
	s_getpc_b64 s[4:5]
	s_add_u32 s4, s4, _ZNK2ck6detail15static_for_implINS_8SequenceIJLi1ELi2ELi3ELi4ELi5ELi6ELi7ELi8ELi9ELi10ELi11ELi12ELi13ELi14ELi15EEEEEclIZNKS_80BlockwiseGemmDl_A_BK0_BM_BK1_B_BK0_BN_BK1_C_BM0_BM1_BN0_BN1_pipeline_BM0_2_BN0_2ILi256EaaiKNS_16TensorDescriptorINS_5TupleIJNS_5EmbedINS8_IJNS_17integral_constantIiLi16EEENSA_IiLi128EEENSA_IiLi4EEEEEENS8_IJNSA_IiLi512EEESD_NSA_IiLi1EEEEEELb0EEEEEENS8_IJNS2_IJLi0EEEEEEENS8_IJNS2_IJLi1ELi2ELi3EEEEEEESM_NSA_IlLl8192EEEEESQ_Li4ELi4ELi1ENS2_IJLi8ELi2EEEESR_Li4ELi4ELb0EE3RunINS7_INS8_IJNS_7UnMergeINS8_IJNSA_IiLi2EEESD_SV_SD_EEELb0EEEEEESL_NS8_IJNS2_IJLi1ELi2ELi3ELi4EEEEEEESZ_NSA_IlLl64EEEEENS_13DynamicBufferILNS_16AddressSpaceEnumE2EaSO_Lb1ELNS_22AmdBufferCoherenceEnumE0EiEES16_NS_12StaticBufferILS14_4EiLi64ELb1EEEEEvRKT_RKT0_RKT1_RT2_EUlS19_E_EEvS19_@rel32@lo+4
	s_addc_u32 s5, s5, _ZNK2ck6detail15static_for_implINS_8SequenceIJLi1ELi2ELi3ELi4ELi5ELi6ELi7ELi8ELi9ELi10ELi11ELi12ELi13ELi14ELi15EEEEEclIZNKS_80BlockwiseGemmDl_A_BK0_BM_BK1_B_BK0_BN_BK1_C_BM0_BM1_BN0_BN1_pipeline_BM0_2_BN0_2ILi256EaaiKNS_16TensorDescriptorINS_5TupleIJNS_5EmbedINS8_IJNS_17integral_constantIiLi16EEENSA_IiLi128EEENSA_IiLi4EEEEEENS8_IJNSA_IiLi512EEESD_NSA_IiLi1EEEEEELb0EEEEEENS8_IJNS2_IJLi0EEEEEEENS8_IJNS2_IJLi1ELi2ELi3EEEEEEESM_NSA_IlLl8192EEEEESQ_Li4ELi4ELi1ENS2_IJLi8ELi2EEEESR_Li4ELi4ELb0EE3RunINS7_INS8_IJNS_7UnMergeINS8_IJNSA_IiLi2EEESD_SV_SD_EEELb0EEEEEESL_NS8_IJNS2_IJLi1ELi2ELi3ELi4EEEEEEESZ_NSA_IlLl64EEEEENS_13DynamicBufferILNS_16AddressSpaceEnumE2EaSO_Lb1ELNS_22AmdBufferCoherenceEnumE0EiEES16_NS_12StaticBufferILS14_4EiLi64ELb1EEEEEvRKT_RKT0_RKT1_RT2_EUlS19_E_EEvS19_@rel32@hi+12
	s_waitcnt vmcnt(3)
	v_ashrrev_i32_e32 v10, 31, v0
	s_waitcnt vmcnt(2)
	v_add_co_u32 v32, vcc_lo, v5, v0
	s_waitcnt vmcnt(1)
	v_ashrrev_i32_e32 v4, 31, v9
	v_add_co_ci_u32_e32 v33, vcc_lo, v6, v10, vcc_lo
	s_waitcnt vmcnt(0)
	v_add_co_u32 v9, vcc_lo, v7, v9
	s_delay_alu instid0(VALU_DEP_3)
	v_add_co_ci_u32_e32 v10, vcc_lo, v8, v4, vcc_lo
	flat_load_b128 v[0:3], v[32:33]
	s_waitcnt vmcnt(0) lgkmcnt(0)
	scratch_store_b128 off, v[0:3], off
	flat_load_b128 v[4:7], v[9:10]
	s_waitcnt vmcnt(0) lgkmcnt(0)
	scratch_store_b128 off, v[4:7], off offset:32
	flat_load_b128 v[8:11], v[9:10] offset:256
	s_clause 0x7
	scratch_load_b128 v[12:15], off, off offset:144
	scratch_load_b128 v[16:19], off, off offset:176
	;; [unrolled: 1-line block ×8, first 2 shown]
	s_waitcnt vmcnt(8) lgkmcnt(0)
	scratch_store_b128 off, v[8:11], off offset:48
	flat_load_b128 v[50:53], v[32:33] offset:256
	s_clause 0x3
	s_load_b64 s[16:17], s[0:1], 0x1e8
	s_load_b32 s11, s[0:1], 0x1f4
	s_load_b32 s3, s[0:1], 0x200
	;; [unrolled: 1-line block ×3, first 2 shown]
	s_waitcnt vmcnt(8)
	v_dot4_i32_iu8 v12, v0, v4, v12 neg_lo:[1,1,0]
	v_dot4_i32_iu8 v13, v0, v5, v13 neg_lo:[1,1,0]
	v_dot4_i32_iu8 v14, v0, v6, v14 neg_lo:[1,1,0]
	v_dot4_i32_iu8 v15, v0, v7, v15 neg_lo:[1,1,0]
	s_waitcnt vmcnt(7)
	v_dot4_i32_iu8 v16, v1, v4, v16 neg_lo:[1,1,0]
	v_dot4_i32_iu8 v17, v1, v5, v17 neg_lo:[1,1,0]
	v_dot4_i32_iu8 v18, v1, v6, v18 neg_lo:[1,1,0]
	v_dot4_i32_iu8 v19, v1, v7, v19 neg_lo:[1,1,0]
	;; [unrolled: 5-line block ×5, first 2 shown]
	s_mov_b64 s[0:1], src_private_base
	s_waitcnt vmcnt(3)
	v_dot4_i32_iu8 v28, v1, v8, v38 neg_lo:[1,1,0]
	v_dot4_i32_iu8 v29, v1, v9, v39 neg_lo:[1,1,0]
	;; [unrolled: 1-line block ×4, first 2 shown]
	s_waitcnt vmcnt(2)
	v_dot4_i32_iu8 v38, v2, v8, v42 neg_lo:[1,1,0]
	v_dot4_i32_iu8 v39, v2, v9, v43 neg_lo:[1,1,0]
	;; [unrolled: 1-line block ×4, first 2 shown]
	s_waitcnt vmcnt(1)
	v_dot4_i32_iu8 v0, v3, v8, v46 neg_lo:[1,1,0]
	v_dot4_i32_iu8 v1, v3, v9, v47 neg_lo:[1,1,0]
	;; [unrolled: 1-line block ×3, first 2 shown]
	v_mov_b32_e32 v10, 0x1a0
	v_dot4_i32_iu8 v3, v3, v11, v49 neg_lo:[1,1,0]
	v_dual_mov_b32 v8, 0x90 :: v_dual_mov_b32 v9, s1
	v_mov_b32_e32 v11, s1
	s_clause 0x7
	scratch_store_b128 off, v[12:15], off offset:144
	scratch_store_b128 off, v[24:27], off offset:160
	scratch_store_b128 off, v[16:19], off offset:176
	scratch_store_b128 off, v[28:31], off offset:192
	scratch_store_b128 off, v[20:23], off offset:208
	scratch_store_b128 off, v[38:41], off offset:224
	scratch_store_b128 off, v[4:7], off offset:240
	scratch_store_b128 off, v[0:3], off offset:256
	s_waitcnt vmcnt(0) lgkmcnt(0)
	scratch_store_b128 off, v[50:53], off offset:16
	v_mov_b32_e32 v0, 64
	v_mov_b32_e32 v2, 0x190
	;; [unrolled: 1-line block ×3, first 2 shown]
	v_dual_mov_b32 v6, 32 :: v_dual_mov_b32 v1, s1
	v_mov_b32_e32 v3, s1
	v_mov_b32_e32 v5, s1
	;; [unrolled: 1-line block ×3, first 2 shown]
	s_swappc_b64 s[30:31], s[4:5]
	s_clause 0xd
	scratch_load_b32 v36, off, off offset:16
	scratch_load_b32 v62, off, off offset:32
	scratch_load_b128 v[0:3], off, off offset:272
	scratch_load_b128 v[4:7], off, off offset:32
	;; [unrolled: 1-line block ×6, first 2 shown]
	scratch_load_b32 v38, off, off offset:48
	scratch_load_b128 v[28:31], off, off offset:288
	scratch_load_b128 v[42:45], off, off offset:48
	;; [unrolled: 1-line block ×5, first 2 shown]
	v_add_nc_u32_e32 v53, s18, v35
	v_add_nc_u32_e32 v52, s15, v37
	s_mov_b32 s39, s27
	s_lshl_b32 s4, s35, 6
	s_lshl_b32 s18, s17, 6
	s_waitcnt vmcnt(10)
	v_mul_lo_u32 v4, v53, s34
	v_cmp_gt_i32_e64 s0, s80, v52
	v_cmp_gt_i32_e64 s1, s33, v53
	s_add_i32 s2, s4, s34
	s_add_i32 s20, s17, s16
	s_mov_b32 s15, s27
	s_lshl_b32 s19, s16, 6
	s_and_b32 vcc_lo, s1, s0
	v_dot4_i32_iu8 v32, v36, v62, v0 neg_lo:[1,1,0]
	v_mad_u64_u32 v[50:51], null, v52, s35, v[4:5]
	v_dot4_i32_iu8 v33, v36, v5, v1 neg_lo:[1,1,0]
	v_dot4_i32_iu8 v34, v36, v6, v2 neg_lo:[1,1,0]
	;; [unrolled: 1-line block ×3, first 2 shown]
	s_waitcnt vmcnt(4)
	v_dot4_i32_iu8 v28, v36, v38, v28 neg_lo:[1,1,0]
	s_waitcnt vmcnt(3)
	v_dot4_i32_iu8 v29, v36, v43, v29 neg_lo:[1,1,0]
	v_dot4_i32_iu8 v30, v36, v44, v30 neg_lo:[1,1,0]
	;; [unrolled: 1-line block ×11, first 2 shown]
	s_waitcnt vmcnt(2)
	v_dot4_i32_iu8 v20, v39, v38, v46 neg_lo:[1,1,0]
	v_dot4_i32_iu8 v21, v39, v43, v47 neg_lo:[1,1,0]
	v_dot4_i32_iu8 v22, v39, v44, v48 neg_lo:[1,1,0]
	v_dot4_i32_iu8 v23, v39, v45, v49 neg_lo:[1,1,0]
	v_dot4_i32_iu8 v16, v40, v62, v12 neg_lo:[1,1,0]
	v_dot4_i32_iu8 v17, v40, v5, v13 neg_lo:[1,1,0]
	v_dot4_i32_iu8 v18, v40, v6, v14 neg_lo:[1,1,0]
	v_dot4_i32_iu8 v19, v40, v7, v15 neg_lo:[1,1,0]
	s_waitcnt vmcnt(1)
	v_dot4_i32_iu8 v12, v40, v38, v54 neg_lo:[1,1,0]
	v_dot4_i32_iu8 v13, v40, v43, v55 neg_lo:[1,1,0]
	;; [unrolled: 1-line block ×4, first 2 shown]
	s_waitcnt vmcnt(0)
	v_dot4_i32_iu8 v4, v41, v38, v58 neg_lo:[1,1,0]
	v_dot4_i32_iu8 v5, v41, v43, v59 neg_lo:[1,1,0]
	;; [unrolled: 1-line block ×4, first 2 shown]
	s_clause 0x7
	scratch_store_b128 off, v[32:35], off offset:272
	scratch_store_b128 off, v[28:31], off offset:288
	;; [unrolled: 1-line block ×8, first 2 shown]
	buffer_load_b32 v36, v50, s[36:39], 0 offen
	scratch_load_b128 v[0:3], off, off offset:144
	s_waitcnt vmcnt(1)
	v_cndmask_b32_e32 v40, 0, v36, vcc_lo
	scratch_load_b128 v[36:39], off, off offset:160
	v_or_b32_e32 v55, 1, v53
	v_or_b32_e32 v68, 2, v53
	;; [unrolled: 1-line block ×3, first 2 shown]
	v_lshrrev_b32_e32 v41, 8, v40
	v_lshrrev_b32_e32 v42, 16, v40
	;; [unrolled: 1-line block ×3, first 2 shown]
	s_waitcnt vmcnt(1)
	v_add_nc_u16 v0, v40, v0
	v_add_nc_u32_e32 v40, s4, v50
	v_add_nc_u16 v1, v41, v1
	v_add_nc_u16 v2, v42, v2
	;; [unrolled: 1-line block ×3, first 2 shown]
	v_bfe_i32 v0, v0, 0, 8
	s_delay_alu instid0(VALU_DEP_4) | instskip(NEXT) | instid1(VALU_DEP_4)
	v_bfe_i32 v1, v1, 0, 8
	v_bfe_i32 v2, v2, 0, 8
	s_delay_alu instid0(VALU_DEP_4) | instskip(NEXT) | instid1(VALU_DEP_4)
	v_bfe_i32 v3, v3, 0, 8
	v_max_i16 v0, v0, 0
	s_delay_alu instid0(VALU_DEP_4) | instskip(NEXT) | instid1(VALU_DEP_4)
	v_max_i16 v1, v1, 0
	v_max_i16 v54, v2, 0
	s_delay_alu instid0(VALU_DEP_4) | instskip(NEXT) | instid1(VALU_DEP_4)
	v_max_i16 v3, v3, 0
	v_and_b32_e32 v0, 0xffff, v0
	s_delay_alu instid0(VALU_DEP_4) | instskip(NEXT) | instid1(VALU_DEP_4)
	v_and_b32_e32 v1, 0xffff, v1
	v_and_b32_e32 v2, 0xffff, v54
	s_delay_alu instid0(VALU_DEP_4) | instskip(SKIP_4) | instid1(VALU_DEP_2)
	v_and_b32_e32 v3, 0xffff, v3
	scratch_store_b128 off, v[0:3], off offset:144
	buffer_load_b32 v41, v40, s[36:39], 0 offen
	v_add_nc_u32_e32 v2, 64, v52
	v_lshlrev_b32_e32 v3, 24, v3
	v_cmp_gt_i32_e32 vcc_lo, s80, v2
	s_and_b32 s1, s1, vcc_lo
	s_waitcnt vmcnt(0)
	v_cndmask_b32_e64 v41, 0, v41, s1
	s_lshl_b32 s1, s35, 7
	s_delay_alu instid0(SALU_CYCLE_1) | instskip(SKIP_1) | instid1(VALU_DEP_2)
	s_sub_i32 s5, s2, s1
	v_cmp_gt_i32_e64 s1, s33, v55
	v_lshrrev_b32_e32 v42, 8, v41
	v_lshrrev_b32_e32 v43, 16, v41
	;; [unrolled: 1-line block ×3, first 2 shown]
	v_add_nc_u16 v36, v41, v36
	s_and_b32 s2, s1, s0
	v_add_nc_u16 v37, v42, v37
	v_add_nc_u16 v38, v43, v38
	v_add_nc_u16 v39, v44, v39
	v_bfe_i32 v36, v36, 0, 8
	v_add_nc_u32_e32 v44, s5, v40
	v_bfe_i32 v37, v37, 0, 8
	v_bfe_i32 v38, v38, 0, 8
	;; [unrolled: 1-line block ×3, first 2 shown]
	v_max_i16 v36, v36, 0
	scratch_load_b128 v[40:43], off, off offset:176
	v_max_i16 v37, v37, 0
	v_max_i16 v38, v38, 0
	;; [unrolled: 1-line block ×3, first 2 shown]
	v_and_b32_e32 v36, 0xffff, v36
	s_and_b32 s1, s1, vcc_lo
	v_and_b32_e32 v37, 0xffff, v37
	v_and_b32_e32 v38, 0xffff, v38
	;; [unrolled: 1-line block ×3, first 2 shown]
	scratch_store_b128 off, v[36:39], off offset:160
	buffer_load_b32 v36, v44, s[36:39], 0 offen
	s_waitcnt vmcnt(0)
	v_cndmask_b32_e64 v45, 0, v36, s2
	scratch_load_b128 v[36:39], off, off offset:160
	v_lshrrev_b32_e32 v46, 8, v45
	v_lshrrev_b32_e32 v47, 16, v45
	;; [unrolled: 1-line block ×3, first 2 shown]
	v_add_nc_u16 v40, v45, v40
	s_delay_alu instid0(VALU_DEP_4) | instskip(NEXT) | instid1(VALU_DEP_4)
	v_add_nc_u16 v41, v46, v41
	v_add_nc_u16 v42, v47, v42
	s_delay_alu instid0(VALU_DEP_4) | instskip(NEXT) | instid1(VALU_DEP_4)
	v_add_nc_u16 v43, v48, v43
	v_bfe_i32 v40, v40, 0, 8
	v_add_nc_u32_e32 v48, s4, v44
	v_bfe_i32 v41, v41, 0, 8
	v_bfe_i32 v42, v42, 0, 8
	;; [unrolled: 1-line block ×3, first 2 shown]
	v_max_i16 v40, v40, 0
	scratch_load_b128 v[44:47], off, off offset:192
	v_max_i16 v41, v41, 0
	v_max_i16 v42, v42, 0
	;; [unrolled: 1-line block ×3, first 2 shown]
	v_and_b32_e32 v40, 0xffff, v40
	s_delay_alu instid0(VALU_DEP_4) | instskip(NEXT) | instid1(VALU_DEP_4)
	v_and_b32_e32 v41, 0xffff, v41
	v_and_b32_e32 v42, 0xffff, v42
	s_delay_alu instid0(VALU_DEP_4)
	v_and_b32_e32 v43, 0xffff, v43
	scratch_store_b128 off, v[40:43], off offset:176
	buffer_load_b32 v40, v48, s[36:39], 0 offen
	s_waitcnt vmcnt(2)
	v_lshlrev_b32_e32 v37, 8, v37
	v_lshlrev_b32_e32 v38, 16, v38
	;; [unrolled: 1-line block ×3, first 2 shown]
	s_delay_alu instid0(VALU_DEP_3) | instskip(NEXT) | instid1(VALU_DEP_3)
	v_perm_b32 v36, v37, v36, 0xc0c0500
	v_and_b32_e32 v37, 0xff0000, v38
	s_waitcnt vmcnt(0)
	v_cndmask_b32_e64 v49, 0, v40, s1
	scratch_load_b128 v[40:43], off, off offset:176
	v_cmp_gt_i32_e64 s1, s33, v68
	v_lshrrev_b32_e32 v50, 8, v49
	v_lshrrev_b32_e32 v51, 16, v49
	;; [unrolled: 1-line block ×3, first 2 shown]
	v_add_nc_u16 v44, v49, v44
	s_and_b32 s2, s1, s0
	v_add_nc_u16 v45, v50, v45
	v_add_nc_u16 v46, v51, v46
	;; [unrolled: 1-line block ×3, first 2 shown]
	v_bfe_i32 v44, v44, 0, 8
	v_add_nc_u32_e32 v56, s5, v48
	v_bfe_i32 v45, v45, 0, 8
	v_bfe_i32 v46, v46, 0, 8
	v_bfe_i32 v47, v47, 0, 8
	v_max_i16 v44, v44, 0
	scratch_load_b128 v[48:51], off, off offset:208
	v_max_i16 v45, v45, 0
	v_max_i16 v46, v46, 0
	;; [unrolled: 1-line block ×3, first 2 shown]
	v_and_b32_e32 v44, 0xffff, v44
	s_and_b32 s1, s1, vcc_lo
	v_and_b32_e32 v45, 0xffff, v45
	v_and_b32_e32 v46, 0xffff, v46
	;; [unrolled: 1-line block ×3, first 2 shown]
	scratch_store_b128 off, v[44:47], off offset:192
	buffer_load_b32 v44, v56, s[36:39], 0 offen
	s_waitcnt vmcnt(2)
	v_lshlrev_b32_e32 v41, 8, v41
	v_lshlrev_b32_e32 v42, 16, v42
	s_waitcnt vmcnt(0)
	v_cndmask_b32_e64 v57, 0, v44, s2
	scratch_load_b128 v[44:47], off, off offset:192
	v_lshrrev_b32_e32 v58, 8, v57
	v_lshrrev_b32_e32 v59, 16, v57
	;; [unrolled: 1-line block ×3, first 2 shown]
	v_add_nc_u16 v48, v57, v48
	s_delay_alu instid0(VALU_DEP_4) | instskip(NEXT) | instid1(VALU_DEP_4)
	v_add_nc_u16 v49, v58, v49
	v_add_nc_u16 v50, v59, v50
	s_delay_alu instid0(VALU_DEP_4) | instskip(NEXT) | instid1(VALU_DEP_4)
	v_add_nc_u16 v51, v60, v51
	v_bfe_i32 v48, v48, 0, 8
	v_add_nc_u32_e32 v60, s4, v56
	v_bfe_i32 v49, v49, 0, 8
	v_bfe_i32 v50, v50, 0, 8
	;; [unrolled: 1-line block ×3, first 2 shown]
	v_max_i16 v48, v48, 0
	scratch_load_b128 v[56:59], off, off offset:224
	v_max_i16 v49, v49, 0
	v_max_i16 v50, v50, 0
	;; [unrolled: 1-line block ×3, first 2 shown]
	v_and_b32_e32 v48, 0xffff, v48
	s_delay_alu instid0(VALU_DEP_4) | instskip(NEXT) | instid1(VALU_DEP_4)
	v_and_b32_e32 v49, 0xffff, v49
	v_and_b32_e32 v50, 0xffff, v50
	s_delay_alu instid0(VALU_DEP_4)
	v_and_b32_e32 v51, 0xffff, v51
	scratch_store_b128 off, v[48:51], off offset:208
	buffer_load_b32 v48, v60, s[36:39], 0 offen
	s_waitcnt vmcnt(0)
	v_cndmask_b32_e64 v61, 0, v48, s1
	scratch_load_b128 v[48:51], off, off offset:208
	v_cmp_gt_i32_e64 s1, s33, v69
	v_lshrrev_b32_e32 v62, 8, v61
	v_lshrrev_b32_e32 v63, 16, v61
	;; [unrolled: 1-line block ×3, first 2 shown]
	v_add_nc_u16 v56, v61, v56
	s_and_b32 s2, s1, s0
	v_add_nc_u16 v57, v62, v57
	v_add_nc_u16 v58, v63, v58
	;; [unrolled: 1-line block ×3, first 2 shown]
	v_bfe_i32 v56, v56, 0, 8
	v_add_nc_u32_e32 v64, s5, v60
	v_bfe_i32 v57, v57, 0, 8
	v_bfe_i32 v58, v58, 0, 8
	;; [unrolled: 1-line block ×3, first 2 shown]
	v_max_i16 v56, v56, 0
	s_and_b32 s1, s1, vcc_lo
	v_max_i16 v57, v57, 0
	v_max_i16 v58, v58, 0
	;; [unrolled: 1-line block ×3, first 2 shown]
	v_and_b32_e32 v56, 0xffff, v56
	s_delay_alu instid0(VALU_DEP_4) | instskip(NEXT) | instid1(VALU_DEP_4)
	v_and_b32_e32 v57, 0xffff, v57
	v_and_b32_e32 v58, 0xffff, v58
	s_delay_alu instid0(VALU_DEP_4)
	v_and_b32_e32 v59, 0xffff, v59
	scratch_store_b128 off, v[56:59], off offset:224
	buffer_load_b32 v60, v64, s[36:39], 0 offen
	scratch_load_b128 v[56:59], off, off offset:240
	s_waitcnt vmcnt(1)
	v_cndmask_b32_e64 v65, 0, v60, s2
	scratch_load_b128 v[60:63], off, off offset:224
	v_lshrrev_b32_e32 v66, 8, v65
	v_lshrrev_b32_e32 v67, 16, v65
	;; [unrolled: 1-line block ×3, first 2 shown]
	s_waitcnt vmcnt(1)
	v_add_nc_u16 v56, v65, v56
	v_add_nc_u16 v57, v66, v57
	v_add_nc_u16 v58, v67, v58
	v_add_nc_u16 v59, v70, v59
	s_delay_alu instid0(VALU_DEP_4)
	v_bfe_i32 v56, v56, 0, 8
	v_add_nc_u32_e32 v70, s4, v64
	v_bfe_i32 v57, v57, 0, 8
	v_bfe_i32 v58, v58, 0, 8
	;; [unrolled: 1-line block ×3, first 2 shown]
	v_max_i16 v56, v56, 0
	s_delay_alu instid0(VALU_DEP_4) | instskip(NEXT) | instid1(VALU_DEP_4)
	v_max_i16 v57, v57, 0
	v_max_i16 v58, v58, 0
	s_delay_alu instid0(VALU_DEP_4) | instskip(NEXT) | instid1(VALU_DEP_4)
	v_max_i16 v59, v59, 0
	v_and_b32_e32 v56, 0xffff, v56
	s_delay_alu instid0(VALU_DEP_4) | instskip(NEXT) | instid1(VALU_DEP_4)
	v_and_b32_e32 v57, 0xffff, v57
	v_and_b32_e32 v58, 0xffff, v58
	s_delay_alu instid0(VALU_DEP_4)
	v_and_b32_e32 v59, 0xffff, v59
	scratch_store_b128 off, v[56:59], off offset:240
	buffer_load_b32 v64, v70, s[36:39], 0 offen
	scratch_load_b128 v[56:59], off, off offset:256
	s_waitcnt vmcnt(1)
	v_cndmask_b32_e64 v71, 0, v64, s1
	scratch_load_b128 v[64:67], off, off offset:240
	s_mul_i32 s1, s34, 60
	s_delay_alu instid0(SALU_CYCLE_1)
	v_add3_u32 v70, s5, s1, v70
	v_lshrrev_b32_e32 v72, 8, v71
	v_lshrrev_b32_e32 v73, 16, v71
	;; [unrolled: 1-line block ×3, first 2 shown]
	s_waitcnt vmcnt(1)
	v_add_nc_u16 v56, v71, v56
	v_add_nc_u32_e32 v71, 64, v53
	v_add_nc_u16 v57, v72, v57
	v_add_nc_u16 v58, v73, v58
	;; [unrolled: 1-line block ×3, first 2 shown]
	v_bfe_i32 v56, v56, 0, 8
	v_cmp_gt_i32_e64 s1, s33, v71
	v_bfe_i32 v57, v57, 0, 8
	v_bfe_i32 v58, v58, 0, 8
	;; [unrolled: 1-line block ×3, first 2 shown]
	v_max_i16 v56, v56, 0
	s_and_b32 s2, s1, s0
	v_max_i16 v57, v57, 0
	v_max_i16 v58, v58, 0
	;; [unrolled: 1-line block ×3, first 2 shown]
	v_and_b32_e32 v56, 0xffff, v56
	s_and_b32 s1, s1, vcc_lo
	v_and_b32_e32 v57, 0xffff, v57
	v_and_b32_e32 v58, 0xffff, v58
	;; [unrolled: 1-line block ×3, first 2 shown]
	v_add_nc_u32_e32 v72, 0x42, v53
	v_add_nc_u32_e32 v73, 0x43, v53
	scratch_store_b128 off, v[56:59], off offset:256
	buffer_load_b32 v56, v70, s[36:39], 0 offen
	v_cmp_gt_i32_e64 s7, s11, v72
	v_cmp_ge_i32_e64 s8, s11, v72
	v_cmp_ge_i32_e64 s6, s11, v73
	s_waitcnt vmcnt(0)
	v_cndmask_b32_e64 v56, 0, v56, s2
	s_delay_alu instid0(VALU_DEP_1)
	v_lshrrev_b32_e32 v57, 8, v56
	v_lshrrev_b32_e32 v58, 16, v56
	v_lshrrev_b32_e32 v59, 24, v56
	v_add_nc_u16 v32, v56, v32
	v_add_nc_u32_e32 v56, s4, v70
	v_add_nc_u16 v33, v57, v33
	v_add_nc_u16 v34, v58, v34
	;; [unrolled: 1-line block ×3, first 2 shown]
	v_bfe_i32 v32, v32, 0, 8
	v_add_nc_u32_e32 v70, 0x41, v53
	v_bfe_i32 v33, v33, 0, 8
	v_bfe_i32 v34, v34, 0, 8
	;; [unrolled: 1-line block ×3, first 2 shown]
	v_max_i16 v32, v32, 0
	v_cmp_gt_i32_e64 s9, s11, v70
	v_max_i16 v33, v33, 0
	v_max_i16 v34, v34, 0
	;; [unrolled: 1-line block ×3, first 2 shown]
	v_and_b32_e32 v32, 0xffff, v32
	v_cmp_ge_i32_e64 s10, s11, v70
	v_and_b32_e32 v33, 0xffff, v33
	v_and_b32_e32 v34, 0xffff, v34
	;; [unrolled: 1-line block ×3, first 2 shown]
	scratch_store_b128 off, v[32:35], off offset:272
	buffer_load_b32 v32, v56, s[36:39], 0 offen
	s_waitcnt vmcnt(0)
	v_cndmask_b32_e64 v32, 0, v32, s1
	v_cmp_gt_i32_e64 s1, s33, v70
	s_delay_alu instid0(VALU_DEP_2)
	v_lshrrev_b32_e32 v33, 8, v32
	v_lshrrev_b32_e32 v34, 16, v32
	;; [unrolled: 1-line block ×3, first 2 shown]
	v_add_nc_u16 v28, v32, v28
	v_add_nc_u32_e32 v32, s5, v56
	v_add_nc_u16 v29, v33, v29
	v_add_nc_u16 v30, v34, v30
	;; [unrolled: 1-line block ×3, first 2 shown]
	v_bfe_i32 v28, v28, 0, 8
	s_and_b32 s2, s1, s0
	v_bfe_i32 v29, v29, 0, 8
	v_bfe_i32 v30, v30, 0, 8
	;; [unrolled: 1-line block ×3, first 2 shown]
	v_max_i16 v28, v28, 0
	s_and_b32 s1, s1, vcc_lo
	v_max_i16 v29, v29, 0
	v_max_i16 v30, v30, 0
	;; [unrolled: 1-line block ×3, first 2 shown]
	v_and_b32_e32 v28, 0xffff, v28
	s_delay_alu instid0(VALU_DEP_4) | instskip(NEXT) | instid1(VALU_DEP_4)
	v_and_b32_e32 v29, 0xffff, v29
	v_and_b32_e32 v30, 0xffff, v30
	s_delay_alu instid0(VALU_DEP_4) | instskip(SKIP_4) | instid1(VALU_DEP_1)
	v_and_b32_e32 v31, 0xffff, v31
	scratch_store_b128 off, v[28:31], off offset:288
	buffer_load_b32 v28, v32, s[36:39], 0 offen
	s_waitcnt vmcnt(0)
	v_cndmask_b32_e64 v28, 0, v28, s2
	v_lshrrev_b32_e32 v29, 8, v28
	v_lshrrev_b32_e32 v30, 16, v28
	;; [unrolled: 1-line block ×3, first 2 shown]
	v_add_nc_u16 v24, v28, v24
	v_add_nc_u32_e32 v28, s4, v32
	v_add_nc_u16 v25, v29, v25
	v_add_nc_u16 v26, v30, v26
	;; [unrolled: 1-line block ×3, first 2 shown]
	v_bfe_i32 v24, v24, 0, 8
	s_delay_alu instid0(VALU_DEP_4) | instskip(NEXT) | instid1(VALU_DEP_4)
	v_bfe_i32 v25, v25, 0, 8
	v_bfe_i32 v26, v26, 0, 8
	s_delay_alu instid0(VALU_DEP_4) | instskip(NEXT) | instid1(VALU_DEP_4)
	v_bfe_i32 v27, v27, 0, 8
	v_max_i16 v24, v24, 0
	s_delay_alu instid0(VALU_DEP_4) | instskip(NEXT) | instid1(VALU_DEP_4)
	v_max_i16 v25, v25, 0
	v_max_i16 v26, v26, 0
	s_delay_alu instid0(VALU_DEP_4) | instskip(NEXT) | instid1(VALU_DEP_4)
	v_max_i16 v27, v27, 0
	v_and_b32_e32 v24, 0xffff, v24
	s_delay_alu instid0(VALU_DEP_4) | instskip(NEXT) | instid1(VALU_DEP_4)
	v_and_b32_e32 v25, 0xffff, v25
	v_and_b32_e32 v26, 0xffff, v26
	s_delay_alu instid0(VALU_DEP_4)
	v_and_b32_e32 v27, 0xffff, v27
	scratch_store_b128 off, v[24:27], off offset:304
	buffer_load_b32 v24, v28, s[36:39], 0 offen
	s_waitcnt vmcnt(0)
	v_cndmask_b32_e64 v24, 0, v24, s1
	v_cmp_gt_i32_e64 s1, s33, v72
	s_delay_alu instid0(VALU_DEP_2)
	v_lshrrev_b32_e32 v25, 8, v24
	v_lshrrev_b32_e32 v26, 16, v24
	;; [unrolled: 1-line block ×3, first 2 shown]
	v_add_nc_u16 v20, v24, v20
	v_add_nc_u32_e32 v24, s5, v28
	v_add_nc_u16 v21, v25, v21
	v_add_nc_u16 v22, v26, v22
	;; [unrolled: 1-line block ×3, first 2 shown]
	v_bfe_i32 v20, v20, 0, 8
	s_and_b32 s2, s1, s0
	v_bfe_i32 v21, v21, 0, 8
	v_bfe_i32 v22, v22, 0, 8
	;; [unrolled: 1-line block ×3, first 2 shown]
	v_max_i16 v20, v20, 0
	s_and_b32 s1, s1, vcc_lo
	v_max_i16 v21, v21, 0
	v_max_i16 v22, v22, 0
	;; [unrolled: 1-line block ×3, first 2 shown]
	v_and_b32_e32 v20, 0xffff, v20
	s_delay_alu instid0(VALU_DEP_4) | instskip(NEXT) | instid1(VALU_DEP_4)
	v_and_b32_e32 v21, 0xffff, v21
	v_and_b32_e32 v22, 0xffff, v22
	s_delay_alu instid0(VALU_DEP_4)
	v_and_b32_e32 v23, 0xffff, v23
	scratch_store_b128 off, v[20:23], off offset:320
	buffer_load_b32 v20, v24, s[36:39], 0 offen
	s_waitcnt vmcnt(0)
	v_cndmask_b32_e64 v20, 0, v20, s2
	v_cmp_gt_i32_e64 s2, s11, v55
	s_delay_alu instid0(VALU_DEP_2)
	v_lshrrev_b32_e32 v21, 8, v20
	v_lshrrev_b32_e32 v22, 16, v20
	;; [unrolled: 1-line block ×3, first 2 shown]
	v_add_nc_u16 v16, v20, v16
	v_add_nc_u32_e32 v20, s4, v24
	v_add_nc_u16 v17, v21, v17
	v_add_nc_u16 v18, v22, v18
	;; [unrolled: 1-line block ×3, first 2 shown]
	v_bfe_i32 v16, v16, 0, 8
	s_delay_alu instid0(VALU_DEP_4) | instskip(NEXT) | instid1(VALU_DEP_4)
	v_bfe_i32 v17, v17, 0, 8
	v_bfe_i32 v18, v18, 0, 8
	s_delay_alu instid0(VALU_DEP_4) | instskip(NEXT) | instid1(VALU_DEP_4)
	v_bfe_i32 v19, v19, 0, 8
	v_max_i16 v16, v16, 0
	s_delay_alu instid0(VALU_DEP_4) | instskip(NEXT) | instid1(VALU_DEP_4)
	v_max_i16 v17, v17, 0
	v_max_i16 v18, v18, 0
	s_delay_alu instid0(VALU_DEP_4) | instskip(NEXT) | instid1(VALU_DEP_4)
	v_max_i16 v19, v19, 0
	v_and_b32_e32 v16, 0xffff, v16
	s_delay_alu instid0(VALU_DEP_4) | instskip(NEXT) | instid1(VALU_DEP_4)
	v_and_b32_e32 v17, 0xffff, v17
	v_and_b32_e32 v18, 0xffff, v18
	s_delay_alu instid0(VALU_DEP_4)
	v_and_b32_e32 v19, 0xffff, v19
	scratch_store_b128 off, v[16:19], off offset:336
	buffer_load_b32 v16, v20, s[36:39], 0 offen
	s_waitcnt vmcnt(0)
	v_cndmask_b32_e64 v16, 0, v16, s1
	v_cmp_gt_i32_e64 s1, s33, v73
	s_delay_alu instid0(VALU_DEP_2)
	v_lshrrev_b32_e32 v17, 8, v16
	v_lshrrev_b32_e32 v18, 16, v16
	;; [unrolled: 1-line block ×3, first 2 shown]
	v_add_nc_u16 v12, v16, v12
	v_add_nc_u32_e32 v16, s5, v20
	v_add_nc_u16 v13, v17, v13
	v_add_nc_u16 v14, v18, v14
	;; [unrolled: 1-line block ×3, first 2 shown]
	v_bfe_i32 v12, v12, 0, 8
	s_and_b32 s0, s1, s0
	v_bfe_i32 v13, v13, 0, 8
	v_bfe_i32 v14, v14, 0, 8
	;; [unrolled: 1-line block ×3, first 2 shown]
	v_max_i16 v12, v12, 0
	s_and_b32 vcc_lo, s1, vcc_lo
	v_max_i16 v13, v13, 0
	v_max_i16 v14, v14, 0
	;; [unrolled: 1-line block ×3, first 2 shown]
	v_and_b32_e32 v12, 0xffff, v12
	v_cmp_gt_i32_e64 s5, s11, v73
	v_and_b32_e32 v13, 0xffff, v13
	v_and_b32_e32 v14, 0xffff, v14
	;; [unrolled: 1-line block ×3, first 2 shown]
	scratch_store_b128 off, v[12:15], off offset:352
	buffer_load_b32 v12, v16, s[36:39], 0 offen
	s_waitcnt vmcnt(0)
	v_cndmask_b32_e64 v12, 0, v12, s0
	v_cmp_gt_i32_e64 s0, s11, v53
	v_mul_lo_u32 v53, v53, s16
	s_delay_alu instid0(VALU_DEP_3)
	v_lshrrev_b32_e32 v13, 8, v12
	v_lshrrev_b32_e32 v14, 16, v12
	;; [unrolled: 1-line block ×3, first 2 shown]
	v_add_nc_u16 v8, v12, v8
	v_add_nc_u32_e32 v12, s4, v16
	v_add_nc_u16 v9, v13, v9
	v_add_nc_u16 v10, v14, v10
	;; [unrolled: 1-line block ×3, first 2 shown]
	v_bfe_i32 v8, v8, 0, 8
	v_cmp_gt_i32_e64 s4, s11, v69
	v_bfe_i32 v9, v9, 0, 8
	v_bfe_i32 v10, v10, 0, 8
	;; [unrolled: 1-line block ×3, first 2 shown]
	v_max_i16 v8, v8, 0
	s_delay_alu instid0(VALU_DEP_4) | instskip(NEXT) | instid1(VALU_DEP_4)
	v_max_i16 v9, v9, 0
	v_max_i16 v10, v10, 0
	s_delay_alu instid0(VALU_DEP_4) | instskip(NEXT) | instid1(VALU_DEP_4)
	v_max_i16 v11, v11, 0
	v_and_b32_e32 v8, 0xffff, v8
	s_delay_alu instid0(VALU_DEP_4) | instskip(NEXT) | instid1(VALU_DEP_4)
	v_and_b32_e32 v9, 0xffff, v9
	v_and_b32_e32 v10, 0xffff, v10
	s_delay_alu instid0(VALU_DEP_4)
	v_and_b32_e32 v11, 0xffff, v11
	scratch_store_b128 off, v[8:11], off offset:368
	buffer_load_b32 v20, v12, s[36:39], 0 offen
	s_clause 0x2
	scratch_load_b128 v[8:11], off, off offset:256
	scratch_load_b128 v[12:15], off, off offset:272
	;; [unrolled: 1-line block ×3, first 2 shown]
	s_waitcnt vmcnt(2)
	v_dual_cndmask_b32 v24, 0, v20 :: v_dual_lshlrev_b32 v9, 8, v9
	scratch_load_b128 v[20:23], off, off offset:288
	v_cmp_gt_i32_e32 vcc_lo, s3, v52
	v_lshlrev_b32_e32 v10, 16, v10
	v_lshlrev_b32_e32 v11, 24, v11
	v_lshrrev_b32_e32 v25, 8, v24
	v_lshrrev_b32_e32 v28, 16, v24
	;; [unrolled: 1-line block ×3, first 2 shown]
	v_add_nc_u16 v4, v24, v4
	s_and_b32 s1, s0, vcc_lo
	v_add_nc_u16 v5, v25, v5
	v_add_nc_u16 v6, v28, v6
	scratch_load_b128 v[28:31], off, off offset:320
	v_add_nc_u16 v7, v32, v7
	v_bfe_i32 v4, v4, 0, 8
	v_bfe_i32 v5, v5, 0, 8
	;; [unrolled: 1-line block ×3, first 2 shown]
	scratch_load_b128 v[24:27], off, off offset:336
	v_bfe_i32 v32, v7, 0, 8
	v_max_i16 v56, v4, 0
	v_max_i16 v57, v5, 0
	;; [unrolled: 1-line block ×3, first 2 shown]
	scratch_load_b128 v[4:7], off, off offset:368
	v_max_i16 v59, v32, 0
	v_and_b32_e32 v56, 0xffff, v56
	v_and_b32_e32 v57, 0xffff, v57
	;; [unrolled: 1-line block ×3, first 2 shown]
	scratch_load_b128 v[32:35], off, off offset:352
	v_and_b32_e32 v59, 0xffff, v59
	v_cndmask_b32_e64 v74, 0x80000000, 0, s1
	v_cmp_gt_i32_e64 s1, s3, v2
	v_cmp_gt_i32_e64 s3, s11, v68
	v_mad_u64_u32 v[68:69], null, v52, s17, v[53:54]
	scratch_store_b128 off, v[56:59], off offset:384
	scratch_load_b128 v[56:59], off, off offset:384
	s_and_b32 s0, s0, s1
	v_perm_b32 v8, v9, v8, 0xc0c0500
	v_cndmask_b32_e64 v2, 0x80000000, 0, s0
	s_and_b32 s0, s2, s1
	v_add_nc_u32_e32 v52, s18, v68
	v_and_b32_e32 v9, 0xff0000, v10
	s_waitcnt vmcnt(7)
	v_lshlrev_b32_e32 v13, 8, v13
	v_lshlrev_b32_e32 v14, 16, v14
	v_cndmask_b32_e64 v53, 0x80000000, 0, s0
	v_add_nc_u32_e32 v69, s16, v52
	s_and_b32 s0, s2, vcc_lo
	v_lshlrev_b32_e32 v54, 16, v54
	v_cndmask_b32_e64 v55, 0x80000000, 0, s0
	s_and_b32 s0, s3, vcc_lo
	v_add_nc_u32_e32 v72, s16, v69
	v_cndmask_b32_e64 v70, 0x80000000, 0, s0
	s_and_b32 s0, s3, s1
	v_or3_b32 v8, v8, v9, v11
	v_perm_b32 v11, v13, v12, 0xc0c0500
	v_add_nc_u32_e32 v76, s16, v72
	v_and_b32_e32 v12, 0xff0000, v14
	s_waitcnt vmcnt(6)
	v_lshlrev_b32_e32 v13, 8, v17
	v_lshlrev_b32_e32 v14, 16, v18
	v_cmp_gt_i32_e64 s11, s11, v71
	v_subrev_nc_u32_e32 v79, s18, v76
	v_cndmask_b32_e64 v71, 0x80000000, 0, s0
	s_and_b32 s0, s4, s1
	v_lshl_or_b32 v1, v1, 8, v54
	v_cndmask_b32_e64 v73, 0x80000000, 0, s0
	v_lshl_add_u32 v82, s20, 6, v79
	s_and_b32 s0, s4, vcc_lo
	v_lshlrev_b32_e32 v9, 24, v15
	v_lshlrev_b32_e32 v15, 24, v19
	v_perm_b32 v13, v13, v16, 0xc0c0500
	v_subrev_nc_u32_e32 v85, s16, v82
	v_and_b32_e32 v14, 0xff0000, v14
	v_cndmask_b32_e64 v75, 0x80000000, 0, s0
	s_and_b32 s0, s5, vcc_lo
	v_or3_b32 v0, v3, v1, v0
	v_or3_b32 v1, v36, v37, v39
	v_lshlrev_b32_e32 v3, 24, v43
	v_perm_b32 v36, v41, v40, 0xc0c0500
	v_and_b32_e32 v37, 0xff0000, v42
	v_lshlrev_b32_e32 v39, 8, v45
	v_lshlrev_b32_e32 v40, 16, v46
	;; [unrolled: 1-line block ×4, first 2 shown]
	v_cndmask_b32_e64 v77, 0x80000000, 0, s0
	s_and_b32 s0, s5, s1
	v_add_nc_u32_e32 v88, s16, v68
	v_cndmask_b32_e64 v78, 0x80000000, 0, s0
	s_and_b32 s0, s6, s1
	v_subrev_nc_u32_e32 v89, s18, v85
	v_or3_b32 v13, v13, v14, v15
	v_cndmask_b32_e64 v80, 0x80000000, 0, s0
	s_and_b32 s0, s7, vcc_lo
	v_lshlrev_b32_e32 v41, 24, v47
	v_perm_b32 v39, v39, v44, 0xc0c0500
	v_and_b32_e32 v40, 0xff0000, v40
	v_lshlrev_b32_e32 v44, 24, v51
	v_perm_b32 v42, v42, v48, 0xc0c0500
	v_and_b32_e32 v43, 0xff0000, v43
	v_cndmask_b32_e64 v81, 0x80000000, 0, s0
	s_and_b32 s0, s8, vcc_lo
	v_add_nc_u32_e32 v2, v2, v52
	v_add_nc_u32_e32 v52, v88, v55
	v_subrev_nc_u32_e32 v55, s16, v89
	v_or3_b32 v3, v36, v37, v3
	v_lshlrev_b32_e32 v36, 8, v61
	v_lshlrev_b32_e32 v37, 16, v62
	v_or3_b32 v9, v11, v12, v9
	v_cndmask_b32_e64 v83, 0x80000000, 0, s0
	s_and_b32 s0, s9, s1
	v_or3_b32 v39, v39, v40, v41
	v_or3_b32 v40, v42, v43, v44
	v_lshlrev_b32_e32 v42, 8, v65
	v_lshlrev_b32_e32 v43, 16, v66
	v_cndmask_b32_e64 v84, 0x80000000, 0, s0
	s_and_b32 s0, s11, vcc_lo
	v_add_nc_u32_e32 v68, v74, v68
	v_cndmask_b32_e64 v86, 0x80000000, 0, s0
	v_add_nc_u32_e32 v53, v53, v69
	v_add_nc_u32_e32 v69, v72, v71
	;; [unrolled: 1-line block ×3, first 2 shown]
	v_lshlrev_b32_e32 v41, 24, v63
	v_perm_b32 v36, v36, v60, 0xc0c0500
	v_and_b32_e32 v37, 0xff0000, v37
	v_lshlrev_b32_e32 v44, 24, v67
	v_perm_b32 v42, v42, v64, 0xc0c0500
	v_and_b32_e32 v43, 0xff0000, v43
	s_and_b32 s0, s10, s1
	buffer_store_b32 v0, v68, s[12:15], 0 offen
	v_cndmask_b32_e64 v87, 0x80000000, 0, s0
	v_subrev_nc_u32_e32 v86, s18, v86
	v_add3_u32 v74, v77, s19, v79
	v_subrev_nc_u32_e32 v77, s16, v72
	v_or3_b32 v10, v36, v37, v41
	v_add_nc_u32_e32 v71, v76, v73
	v_add_nc_u32_e32 v73, v79, v75
	v_or3_b32 v36, v42, v43, v44
	v_add3_u32 v70, v70, s16, v88
	v_add_nc_u32_e32 v75, v82, v78
	v_add_nc_u32_e32 v76, v85, v80
	;; [unrolled: 1-line block ×7, first 2 shown]
	s_clause 0x3
	buffer_store_b32 v1, v2, s[12:15], 0 offen
	buffer_store_b32 v39, v53, s[12:15], 0 offen
	;; [unrolled: 1-line block ×4, first 2 shown]
	s_waitcnt vmcnt(5)
	v_lshlrev_b32_e32 v17, 8, v21
	v_lshlrev_b32_e32 v18, 16, v22
	;; [unrolled: 1-line block ×3, first 2 shown]
	s_delay_alu instid0(VALU_DEP_3) | instskip(NEXT) | instid1(VALU_DEP_3)
	v_perm_b32 v12, v17, v20, 0xc0c0500
	v_and_b32_e32 v16, 0xff0000, v18
	s_waitcnt vmcnt(4)
	v_lshlrev_b32_e32 v18, 8, v29
	v_lshlrev_b32_e32 v19, 16, v30
	s_delay_alu instid0(VALU_DEP_3)
	v_or3_b32 v11, v12, v16, v11
	v_lshlrev_b32_e32 v12, 24, v31
	s_waitcnt vmcnt(3)
	v_lshlrev_b32_e32 v14, 8, v25
	v_lshlrev_b32_e32 v15, 16, v26
	;; [unrolled: 1-line block ×3, first 2 shown]
	v_perm_b32 v16, v18, v28, 0xc0c0500
	v_and_b32_e32 v18, 0xff0000, v19
	s_waitcnt vmcnt(2)
	v_lshlrev_b32_e32 v5, 8, v5
	v_lshlrev_b32_e32 v6, 16, v6
	;; [unrolled: 1-line block ×3, first 2 shown]
	v_perm_b32 v14, v14, v24, 0xc0c0500
	v_and_b32_e32 v15, 0xff0000, v15
	v_perm_b32 v4, v5, v4, 0xc0c0500
	v_and_b32_e32 v5, 0xff0000, v6
	s_waitcnt vmcnt(1)
	v_lshlrev_b32_e32 v6, 24, v35
	v_or3_b32 v12, v16, v18, v12
	v_or3_b32 v14, v14, v15, v17
	v_lshlrev_b32_e32 v15, 8, v33
	v_or3_b32 v4, v4, v5, v7
	v_lshlrev_b32_e32 v17, 16, v34
	s_waitcnt vmcnt(0)
	v_lshlrev_b32_e32 v5, 8, v57
	v_lshlrev_b32_e32 v7, 16, v58
	;; [unrolled: 1-line block ×3, first 2 shown]
	v_perm_b32 v15, v15, v32, 0xc0c0500
	v_and_b32_e32 v17, 0xff0000, v17
	v_perm_b32 v5, v5, v56, 0xc0c0500
	v_and_b32_e32 v7, 0xff0000, v7
	s_delay_alu instid0(VALU_DEP_3) | instskip(NEXT) | instid1(VALU_DEP_2)
	v_or3_b32 v6, v15, v17, v6
	v_or3_b32 v0, v5, v7, v0
	s_clause 0xa
	buffer_store_b32 v10, v69, s[12:15], 0 offen
	buffer_store_b32 v8, v71, s[12:15], 0 offen
	;; [unrolled: 1-line block ×11, first 2 shown]
	s_endpgm
	.section	.rodata,"a",@progbits
	.p2align	6, 0x0
	.amdhsa_kernel _ZN2ck16tensor_operation6device12_GLOBAL__N_137kernel_grouped_conv_fwd_dl_multiple_dINS_32GridwiseGemmDlMultipleD_km_kn_mnILi256EaiNS_5TupleIJaEEEaNS0_12element_wise11PassThroughES8_NS7_7AddReluELNS_25InMemoryDataOperationEnumE0ENS_16TensorDescriptorINS5_IJNS_5EmbedINS5_IJiiiiEEESD_Lb0EEENS_11PassThroughIiEENS_3PadIiiiLb0EEESI_SG_SG_NSC_INS5_IJiiEEESJ_Lb0EEESK_SG_NS_23Merge_v2_magic_divisionINS5_IJiiiEEEEESN_NS_8RightPadIiiLb0EEESP_NS_7UnMergeISJ_Lb0EEESG_EEENS5_IJNS_8SequenceIJLi0EEEENST_IJLi1EEEENST_IJLi2EEEENST_IJLi3EEEENST_IJLi4EEEENST_IJLi5EEEENST_IJLi6EEEENST_IJLi7EEEENST_IJLi8EEEENST_IJLi9ELi11ELi13EEEENST_IJLi10ELi12ELi14EEEENST_IJLi15EEEENST_IJLi16EEEENST_IJLi18EEEENST_IJLi17EEEEEEENS5_IJNST_IJLi1ELi2ELi3ELi4EEEESZ_S10_S11_S12_NST_IJLi9EEEENST_IJLi10ELi11EEEENST_IJLi12ELi13EEEENST_IJLi14EEEES15_S16_S18_S17_NST_IJLi19ELi20EEEENST_IJLi21EEEEEEENST_IJLi19ELi21ELi20EEEElEENSB_INS5_IJSR_SP_SP_SR_SG_EEENS5_IJSU_SV_SW_SY_SX_EEENS5_IJNST_IJLi1ELi2EEEESX_SY_NST_IJLi5ELi6EEEES11_EEENST_IJLi5ELi7ELi6EEEElEENSB_INS5_IJSK_SP_SP_EEENS5_IJSU_SV_SW_EEENS5_IJS1M_SX_SY_EEENST_IJLi3ELi4EEEElEELi128ELi128ELi16ELi4ELi4ELi4ELi1ENST_IJLi8ELi2EEEES1W_NST_IJLi8ELi1ELi1ELi4EEEENST_IJLi2ELi1ELi128ELi1EEEENST_IJLi1ELi2ELi0ELi3EEEES1Z_NST_IJLi4ELi1ELi1ELi4EEEES1Z_NST_IJLi1ELi1ELi1ELi4EEEES1X_S1Y_S1Z_S1Z_S20_S1Z_S21_NST_IJLi0ELi1ELi2ELi3ELi4ELi5EEEELi5ELi4EEEaNS5_IJPKaEEEaS8_S8_S9_NSB_INS5_IJSE_SG_SI_SI_SG_SG_SK_SK_SG_SN_SN_SP_SP_SR_SG_SG_NSQ_INS5_IJiNS_17integral_constantIiLi128EEEEEELb0EEENSF_INS27_IiLi4EEEEEEEENS5_IJSU_SV_SW_SX_SY_SZ_S10_S11_S12_S13_S14_S15_S16_S17_S18_NST_IJLi19EEEES1G_NST_IJLi20EEEEEEENS5_IJS1A_SZ_S10_S11_S12_S1B_S1C_S1D_S1E_S15_S16_S18_S17_S1F_S1G_NST_IJLi22EEEENST_IJLi23ELi24EEEENST_IJLi25EEEEEEENST_IJLi22ELi23ELi24ELi25EEEElEENSB_INS5_IJSR_SP_SP_SR_SG_SG_S2A_S2C_EEENS5_IJSU_SV_SW_SY_SX_SZ_S11_S10_EEENS5_IJS1M_SX_SY_S1N_S11_S12_NST_IJLi9ELi10EEEENST_IJLi11EEEEEEENST_IJLi8ELi9ELi10ELi11EEEElEENS5_IJNSB_INS5_IJSK_SP_SP_NSQ_INS5_IJiNS27_IiLi2EEENS27_IiLi64EEEEEELb0EEES2X_EEENS5_IJSU_SV_SW_SX_SY_EEENS5_IJS1M_SX_SY_NST_IJLi5ELi6ELi7EEEENST_IJLi8ELi9ELi10EEEEEEENST_IJLi5ELi6ELi7ELi8ELi9ELi10EEEElEEEEES34_NS_31BlockToCTileMap_M00_N00_M01_N01ILi128ELi128ES1V_Lb0EEENS1_30ComputePtrOffsetOfStridedBatchILi1ELi1ELi1EvEELb0ELb0EEEvPKT0_S3C_T1_PT2_T3_T4_T5_iT6_T7_T8_T9_T10_T11_
		.amdhsa_group_segment_fixed_size 32768
		.amdhsa_private_segment_fixed_size 448
		.amdhsa_kernarg_size 968
		.amdhsa_user_sgpr_count 15
		.amdhsa_user_sgpr_dispatch_ptr 0
		.amdhsa_user_sgpr_queue_ptr 0
		.amdhsa_user_sgpr_kernarg_segment_ptr 1
		.amdhsa_user_sgpr_dispatch_id 0
		.amdhsa_user_sgpr_private_segment_size 0
		.amdhsa_wavefront_size32 1
		.amdhsa_uses_dynamic_stack 0
		.amdhsa_enable_private_segment 1
		.amdhsa_system_sgpr_workgroup_id_x 1
		.amdhsa_system_sgpr_workgroup_id_y 0
		.amdhsa_system_sgpr_workgroup_id_z 0
		.amdhsa_system_sgpr_workgroup_info 0
		.amdhsa_system_vgpr_workitem_id 0
		.amdhsa_next_free_vgpr 90
		.amdhsa_next_free_sgpr 84
		.amdhsa_reserve_vcc 1
		.amdhsa_float_round_mode_32 0
		.amdhsa_float_round_mode_16_64 0
		.amdhsa_float_denorm_mode_32 3
		.amdhsa_float_denorm_mode_16_64 3
		.amdhsa_dx10_clamp 1
		.amdhsa_ieee_mode 1
		.amdhsa_fp16_overflow 0
		.amdhsa_workgroup_processor_mode 1
		.amdhsa_memory_ordered 1
		.amdhsa_forward_progress 0
		.amdhsa_shared_vgpr_count 0
		.amdhsa_exception_fp_ieee_invalid_op 0
		.amdhsa_exception_fp_denorm_src 0
		.amdhsa_exception_fp_ieee_div_zero 0
		.amdhsa_exception_fp_ieee_overflow 0
		.amdhsa_exception_fp_ieee_underflow 0
		.amdhsa_exception_fp_ieee_inexact 0
		.amdhsa_exception_int_div_zero 0
	.end_amdhsa_kernel
	.section	.text._ZN2ck16tensor_operation6device12_GLOBAL__N_137kernel_grouped_conv_fwd_dl_multiple_dINS_32GridwiseGemmDlMultipleD_km_kn_mnILi256EaiNS_5TupleIJaEEEaNS0_12element_wise11PassThroughES8_NS7_7AddReluELNS_25InMemoryDataOperationEnumE0ENS_16TensorDescriptorINS5_IJNS_5EmbedINS5_IJiiiiEEESD_Lb0EEENS_11PassThroughIiEENS_3PadIiiiLb0EEESI_SG_SG_NSC_INS5_IJiiEEESJ_Lb0EEESK_SG_NS_23Merge_v2_magic_divisionINS5_IJiiiEEEEESN_NS_8RightPadIiiLb0EEESP_NS_7UnMergeISJ_Lb0EEESG_EEENS5_IJNS_8SequenceIJLi0EEEENST_IJLi1EEEENST_IJLi2EEEENST_IJLi3EEEENST_IJLi4EEEENST_IJLi5EEEENST_IJLi6EEEENST_IJLi7EEEENST_IJLi8EEEENST_IJLi9ELi11ELi13EEEENST_IJLi10ELi12ELi14EEEENST_IJLi15EEEENST_IJLi16EEEENST_IJLi18EEEENST_IJLi17EEEEEEENS5_IJNST_IJLi1ELi2ELi3ELi4EEEESZ_S10_S11_S12_NST_IJLi9EEEENST_IJLi10ELi11EEEENST_IJLi12ELi13EEEENST_IJLi14EEEES15_S16_S18_S17_NST_IJLi19ELi20EEEENST_IJLi21EEEEEEENST_IJLi19ELi21ELi20EEEElEENSB_INS5_IJSR_SP_SP_SR_SG_EEENS5_IJSU_SV_SW_SY_SX_EEENS5_IJNST_IJLi1ELi2EEEESX_SY_NST_IJLi5ELi6EEEES11_EEENST_IJLi5ELi7ELi6EEEElEENSB_INS5_IJSK_SP_SP_EEENS5_IJSU_SV_SW_EEENS5_IJS1M_SX_SY_EEENST_IJLi3ELi4EEEElEELi128ELi128ELi16ELi4ELi4ELi4ELi1ENST_IJLi8ELi2EEEES1W_NST_IJLi8ELi1ELi1ELi4EEEENST_IJLi2ELi1ELi128ELi1EEEENST_IJLi1ELi2ELi0ELi3EEEES1Z_NST_IJLi4ELi1ELi1ELi4EEEES1Z_NST_IJLi1ELi1ELi1ELi4EEEES1X_S1Y_S1Z_S1Z_S20_S1Z_S21_NST_IJLi0ELi1ELi2ELi3ELi4ELi5EEEELi5ELi4EEEaNS5_IJPKaEEEaS8_S8_S9_NSB_INS5_IJSE_SG_SI_SI_SG_SG_SK_SK_SG_SN_SN_SP_SP_SR_SG_SG_NSQ_INS5_IJiNS_17integral_constantIiLi128EEEEEELb0EEENSF_INS27_IiLi4EEEEEEEENS5_IJSU_SV_SW_SX_SY_SZ_S10_S11_S12_S13_S14_S15_S16_S17_S18_NST_IJLi19EEEES1G_NST_IJLi20EEEEEEENS5_IJS1A_SZ_S10_S11_S12_S1B_S1C_S1D_S1E_S15_S16_S18_S17_S1F_S1G_NST_IJLi22EEEENST_IJLi23ELi24EEEENST_IJLi25EEEEEEENST_IJLi22ELi23ELi24ELi25EEEElEENSB_INS5_IJSR_SP_SP_SR_SG_SG_S2A_S2C_EEENS5_IJSU_SV_SW_SY_SX_SZ_S11_S10_EEENS5_IJS1M_SX_SY_S1N_S11_S12_NST_IJLi9ELi10EEEENST_IJLi11EEEEEEENST_IJLi8ELi9ELi10ELi11EEEElEENS5_IJNSB_INS5_IJSK_SP_SP_NSQ_INS5_IJiNS27_IiLi2EEENS27_IiLi64EEEEEELb0EEES2X_EEENS5_IJSU_SV_SW_SX_SY_EEENS5_IJS1M_SX_SY_NST_IJLi5ELi6ELi7EEEENST_IJLi8ELi9ELi10EEEEEEENST_IJLi5ELi6ELi7ELi8ELi9ELi10EEEElEEEEES34_NS_31BlockToCTileMap_M00_N00_M01_N01ILi128ELi128ES1V_Lb0EEENS1_30ComputePtrOffsetOfStridedBatchILi1ELi1ELi1EvEELb0ELb0EEEvPKT0_S3C_T1_PT2_T3_T4_T5_iT6_T7_T8_T9_T10_T11_,"axG",@progbits,_ZN2ck16tensor_operation6device12_GLOBAL__N_137kernel_grouped_conv_fwd_dl_multiple_dINS_32GridwiseGemmDlMultipleD_km_kn_mnILi256EaiNS_5TupleIJaEEEaNS0_12element_wise11PassThroughES8_NS7_7AddReluELNS_25InMemoryDataOperationEnumE0ENS_16TensorDescriptorINS5_IJNS_5EmbedINS5_IJiiiiEEESD_Lb0EEENS_11PassThroughIiEENS_3PadIiiiLb0EEESI_SG_SG_NSC_INS5_IJiiEEESJ_Lb0EEESK_SG_NS_23Merge_v2_magic_divisionINS5_IJiiiEEEEESN_NS_8RightPadIiiLb0EEESP_NS_7UnMergeISJ_Lb0EEESG_EEENS5_IJNS_8SequenceIJLi0EEEENST_IJLi1EEEENST_IJLi2EEEENST_IJLi3EEEENST_IJLi4EEEENST_IJLi5EEEENST_IJLi6EEEENST_IJLi7EEEENST_IJLi8EEEENST_IJLi9ELi11ELi13EEEENST_IJLi10ELi12ELi14EEEENST_IJLi15EEEENST_IJLi16EEEENST_IJLi18EEEENST_IJLi17EEEEEEENS5_IJNST_IJLi1ELi2ELi3ELi4EEEESZ_S10_S11_S12_NST_IJLi9EEEENST_IJLi10ELi11EEEENST_IJLi12ELi13EEEENST_IJLi14EEEES15_S16_S18_S17_NST_IJLi19ELi20EEEENST_IJLi21EEEEEEENST_IJLi19ELi21ELi20EEEElEENSB_INS5_IJSR_SP_SP_SR_SG_EEENS5_IJSU_SV_SW_SY_SX_EEENS5_IJNST_IJLi1ELi2EEEESX_SY_NST_IJLi5ELi6EEEES11_EEENST_IJLi5ELi7ELi6EEEElEENSB_INS5_IJSK_SP_SP_EEENS5_IJSU_SV_SW_EEENS5_IJS1M_SX_SY_EEENST_IJLi3ELi4EEEElEELi128ELi128ELi16ELi4ELi4ELi4ELi1ENST_IJLi8ELi2EEEES1W_NST_IJLi8ELi1ELi1ELi4EEEENST_IJLi2ELi1ELi128ELi1EEEENST_IJLi1ELi2ELi0ELi3EEEES1Z_NST_IJLi4ELi1ELi1ELi4EEEES1Z_NST_IJLi1ELi1ELi1ELi4EEEES1X_S1Y_S1Z_S1Z_S20_S1Z_S21_NST_IJLi0ELi1ELi2ELi3ELi4ELi5EEEELi5ELi4EEEaNS5_IJPKaEEEaS8_S8_S9_NSB_INS5_IJSE_SG_SI_SI_SG_SG_SK_SK_SG_SN_SN_SP_SP_SR_SG_SG_NSQ_INS5_IJiNS_17integral_constantIiLi128EEEEEELb0EEENSF_INS27_IiLi4EEEEEEEENS5_IJSU_SV_SW_SX_SY_SZ_S10_S11_S12_S13_S14_S15_S16_S17_S18_NST_IJLi19EEEES1G_NST_IJLi20EEEEEEENS5_IJS1A_SZ_S10_S11_S12_S1B_S1C_S1D_S1E_S15_S16_S18_S17_S1F_S1G_NST_IJLi22EEEENST_IJLi23ELi24EEEENST_IJLi25EEEEEEENST_IJLi22ELi23ELi24ELi25EEEElEENSB_INS5_IJSR_SP_SP_SR_SG_SG_S2A_S2C_EEENS5_IJSU_SV_SW_SY_SX_SZ_S11_S10_EEENS5_IJS1M_SX_SY_S1N_S11_S12_NST_IJLi9ELi10EEEENST_IJLi11EEEEEEENST_IJLi8ELi9ELi10ELi11EEEElEENS5_IJNSB_INS5_IJSK_SP_SP_NSQ_INS5_IJiNS27_IiLi2EEENS27_IiLi64EEEEEELb0EEES2X_EEENS5_IJSU_SV_SW_SX_SY_EEENS5_IJS1M_SX_SY_NST_IJLi5ELi6ELi7EEEENST_IJLi8ELi9ELi10EEEEEEENST_IJLi5ELi6ELi7ELi8ELi9ELi10EEEElEEEEES34_NS_31BlockToCTileMap_M00_N00_M01_N01ILi128ELi128ES1V_Lb0EEENS1_30ComputePtrOffsetOfStridedBatchILi1ELi1ELi1EvEELb0ELb0EEEvPKT0_S3C_T1_PT2_T3_T4_T5_iT6_T7_T8_T9_T10_T11_,comdat
.Lfunc_end9:
	.size	_ZN2ck16tensor_operation6device12_GLOBAL__N_137kernel_grouped_conv_fwd_dl_multiple_dINS_32GridwiseGemmDlMultipleD_km_kn_mnILi256EaiNS_5TupleIJaEEEaNS0_12element_wise11PassThroughES8_NS7_7AddReluELNS_25InMemoryDataOperationEnumE0ENS_16TensorDescriptorINS5_IJNS_5EmbedINS5_IJiiiiEEESD_Lb0EEENS_11PassThroughIiEENS_3PadIiiiLb0EEESI_SG_SG_NSC_INS5_IJiiEEESJ_Lb0EEESK_SG_NS_23Merge_v2_magic_divisionINS5_IJiiiEEEEESN_NS_8RightPadIiiLb0EEESP_NS_7UnMergeISJ_Lb0EEESG_EEENS5_IJNS_8SequenceIJLi0EEEENST_IJLi1EEEENST_IJLi2EEEENST_IJLi3EEEENST_IJLi4EEEENST_IJLi5EEEENST_IJLi6EEEENST_IJLi7EEEENST_IJLi8EEEENST_IJLi9ELi11ELi13EEEENST_IJLi10ELi12ELi14EEEENST_IJLi15EEEENST_IJLi16EEEENST_IJLi18EEEENST_IJLi17EEEEEEENS5_IJNST_IJLi1ELi2ELi3ELi4EEEESZ_S10_S11_S12_NST_IJLi9EEEENST_IJLi10ELi11EEEENST_IJLi12ELi13EEEENST_IJLi14EEEES15_S16_S18_S17_NST_IJLi19ELi20EEEENST_IJLi21EEEEEEENST_IJLi19ELi21ELi20EEEElEENSB_INS5_IJSR_SP_SP_SR_SG_EEENS5_IJSU_SV_SW_SY_SX_EEENS5_IJNST_IJLi1ELi2EEEESX_SY_NST_IJLi5ELi6EEEES11_EEENST_IJLi5ELi7ELi6EEEElEENSB_INS5_IJSK_SP_SP_EEENS5_IJSU_SV_SW_EEENS5_IJS1M_SX_SY_EEENST_IJLi3ELi4EEEElEELi128ELi128ELi16ELi4ELi4ELi4ELi1ENST_IJLi8ELi2EEEES1W_NST_IJLi8ELi1ELi1ELi4EEEENST_IJLi2ELi1ELi128ELi1EEEENST_IJLi1ELi2ELi0ELi3EEEES1Z_NST_IJLi4ELi1ELi1ELi4EEEES1Z_NST_IJLi1ELi1ELi1ELi4EEEES1X_S1Y_S1Z_S1Z_S20_S1Z_S21_NST_IJLi0ELi1ELi2ELi3ELi4ELi5EEEELi5ELi4EEEaNS5_IJPKaEEEaS8_S8_S9_NSB_INS5_IJSE_SG_SI_SI_SG_SG_SK_SK_SG_SN_SN_SP_SP_SR_SG_SG_NSQ_INS5_IJiNS_17integral_constantIiLi128EEEEEELb0EEENSF_INS27_IiLi4EEEEEEEENS5_IJSU_SV_SW_SX_SY_SZ_S10_S11_S12_S13_S14_S15_S16_S17_S18_NST_IJLi19EEEES1G_NST_IJLi20EEEEEEENS5_IJS1A_SZ_S10_S11_S12_S1B_S1C_S1D_S1E_S15_S16_S18_S17_S1F_S1G_NST_IJLi22EEEENST_IJLi23ELi24EEEENST_IJLi25EEEEEEENST_IJLi22ELi23ELi24ELi25EEEElEENSB_INS5_IJSR_SP_SP_SR_SG_SG_S2A_S2C_EEENS5_IJSU_SV_SW_SY_SX_SZ_S11_S10_EEENS5_IJS1M_SX_SY_S1N_S11_S12_NST_IJLi9ELi10EEEENST_IJLi11EEEEEEENST_IJLi8ELi9ELi10ELi11EEEElEENS5_IJNSB_INS5_IJSK_SP_SP_NSQ_INS5_IJiNS27_IiLi2EEENS27_IiLi64EEEEEELb0EEES2X_EEENS5_IJSU_SV_SW_SX_SY_EEENS5_IJS1M_SX_SY_NST_IJLi5ELi6ELi7EEEENST_IJLi8ELi9ELi10EEEEEEENST_IJLi5ELi6ELi7ELi8ELi9ELi10EEEElEEEEES34_NS_31BlockToCTileMap_M00_N00_M01_N01ILi128ELi128ES1V_Lb0EEENS1_30ComputePtrOffsetOfStridedBatchILi1ELi1ELi1EvEELb0ELb0EEEvPKT0_S3C_T1_PT2_T3_T4_T5_iT6_T7_T8_T9_T10_T11_, .Lfunc_end9-_ZN2ck16tensor_operation6device12_GLOBAL__N_137kernel_grouped_conv_fwd_dl_multiple_dINS_32GridwiseGemmDlMultipleD_km_kn_mnILi256EaiNS_5TupleIJaEEEaNS0_12element_wise11PassThroughES8_NS7_7AddReluELNS_25InMemoryDataOperationEnumE0ENS_16TensorDescriptorINS5_IJNS_5EmbedINS5_IJiiiiEEESD_Lb0EEENS_11PassThroughIiEENS_3PadIiiiLb0EEESI_SG_SG_NSC_INS5_IJiiEEESJ_Lb0EEESK_SG_NS_23Merge_v2_magic_divisionINS5_IJiiiEEEEESN_NS_8RightPadIiiLb0EEESP_NS_7UnMergeISJ_Lb0EEESG_EEENS5_IJNS_8SequenceIJLi0EEEENST_IJLi1EEEENST_IJLi2EEEENST_IJLi3EEEENST_IJLi4EEEENST_IJLi5EEEENST_IJLi6EEEENST_IJLi7EEEENST_IJLi8EEEENST_IJLi9ELi11ELi13EEEENST_IJLi10ELi12ELi14EEEENST_IJLi15EEEENST_IJLi16EEEENST_IJLi18EEEENST_IJLi17EEEEEEENS5_IJNST_IJLi1ELi2ELi3ELi4EEEESZ_S10_S11_S12_NST_IJLi9EEEENST_IJLi10ELi11EEEENST_IJLi12ELi13EEEENST_IJLi14EEEES15_S16_S18_S17_NST_IJLi19ELi20EEEENST_IJLi21EEEEEEENST_IJLi19ELi21ELi20EEEElEENSB_INS5_IJSR_SP_SP_SR_SG_EEENS5_IJSU_SV_SW_SY_SX_EEENS5_IJNST_IJLi1ELi2EEEESX_SY_NST_IJLi5ELi6EEEES11_EEENST_IJLi5ELi7ELi6EEEElEENSB_INS5_IJSK_SP_SP_EEENS5_IJSU_SV_SW_EEENS5_IJS1M_SX_SY_EEENST_IJLi3ELi4EEEElEELi128ELi128ELi16ELi4ELi4ELi4ELi1ENST_IJLi8ELi2EEEES1W_NST_IJLi8ELi1ELi1ELi4EEEENST_IJLi2ELi1ELi128ELi1EEEENST_IJLi1ELi2ELi0ELi3EEEES1Z_NST_IJLi4ELi1ELi1ELi4EEEES1Z_NST_IJLi1ELi1ELi1ELi4EEEES1X_S1Y_S1Z_S1Z_S20_S1Z_S21_NST_IJLi0ELi1ELi2ELi3ELi4ELi5EEEELi5ELi4EEEaNS5_IJPKaEEEaS8_S8_S9_NSB_INS5_IJSE_SG_SI_SI_SG_SG_SK_SK_SG_SN_SN_SP_SP_SR_SG_SG_NSQ_INS5_IJiNS_17integral_constantIiLi128EEEEEELb0EEENSF_INS27_IiLi4EEEEEEEENS5_IJSU_SV_SW_SX_SY_SZ_S10_S11_S12_S13_S14_S15_S16_S17_S18_NST_IJLi19EEEES1G_NST_IJLi20EEEEEEENS5_IJS1A_SZ_S10_S11_S12_S1B_S1C_S1D_S1E_S15_S16_S18_S17_S1F_S1G_NST_IJLi22EEEENST_IJLi23ELi24EEEENST_IJLi25EEEEEEENST_IJLi22ELi23ELi24ELi25EEEElEENSB_INS5_IJSR_SP_SP_SR_SG_SG_S2A_S2C_EEENS5_IJSU_SV_SW_SY_SX_SZ_S11_S10_EEENS5_IJS1M_SX_SY_S1N_S11_S12_NST_IJLi9ELi10EEEENST_IJLi11EEEEEEENST_IJLi8ELi9ELi10ELi11EEEElEENS5_IJNSB_INS5_IJSK_SP_SP_NSQ_INS5_IJiNS27_IiLi2EEENS27_IiLi64EEEEEELb0EEES2X_EEENS5_IJSU_SV_SW_SX_SY_EEENS5_IJS1M_SX_SY_NST_IJLi5ELi6ELi7EEEENST_IJLi8ELi9ELi10EEEEEEENST_IJLi5ELi6ELi7ELi8ELi9ELi10EEEElEEEEES34_NS_31BlockToCTileMap_M00_N00_M01_N01ILi128ELi128ES1V_Lb0EEENS1_30ComputePtrOffsetOfStridedBatchILi1ELi1ELi1EvEELb0ELb0EEEvPKT0_S3C_T1_PT2_T3_T4_T5_iT6_T7_T8_T9_T10_T11_
                                        ; -- End function
	.section	.AMDGPU.csdata,"",@progbits
; Kernel info:
; codeLenInByte = 8028
; NumSgprs: 86
; NumVgprs: 90
; ScratchSize: 448
; MemoryBound: 0
; FloatMode: 240
; IeeeMode: 1
; LDSByteSize: 32768 bytes/workgroup (compile time only)
; SGPRBlocks: 10
; VGPRBlocks: 11
; NumSGPRsForWavesPerEU: 86
; NumVGPRsForWavesPerEU: 90
; Occupancy: 8
; WaveLimiterHint : 1
; COMPUTE_PGM_RSRC2:SCRATCH_EN: 1
; COMPUTE_PGM_RSRC2:USER_SGPR: 15
; COMPUTE_PGM_RSRC2:TRAP_HANDLER: 0
; COMPUTE_PGM_RSRC2:TGID_X_EN: 1
; COMPUTE_PGM_RSRC2:TGID_Y_EN: 0
; COMPUTE_PGM_RSRC2:TGID_Z_EN: 0
; COMPUTE_PGM_RSRC2:TIDIG_COMP_CNT: 0
	.section	.text._ZN2ck16tensor_operation6device12_GLOBAL__N_137kernel_grouped_conv_fwd_dl_multiple_dINS_32GridwiseGemmDlMultipleD_km_kn_mnILi256EaiNS_5TupleIJaEEEaNS0_12element_wise11PassThroughES8_NS7_7AddReluELNS_25InMemoryDataOperationEnumE0ENS_16TensorDescriptorINS5_IJNS_5EmbedINS5_IJiiiiiEEESD_Lb0EEENS_11PassThroughIiEENS_3PadIiiiLb0EEESI_SI_SG_SG_NSC_INS5_IJiiEEESJ_Lb0EEESK_SK_SG_NS_23Merge_v2_magic_divisionINS5_IJiiiiEEEEESN_NS_8RightPadIiiLb0EEESP_NS_7UnMergeISJ_Lb0EEESG_EEENS5_IJNS_8SequenceIJLi0EEEENST_IJLi1EEEENST_IJLi2EEEENST_IJLi3EEEENST_IJLi4EEEENST_IJLi5EEEENST_IJLi6EEEENST_IJLi7EEEENST_IJLi8EEEENST_IJLi9EEEENST_IJLi10EEEENST_IJLi11ELi13ELi15ELi17EEEENST_IJLi12ELi14ELi16ELi18EEEENST_IJLi19EEEENST_IJLi20EEEENST_IJLi22EEEENST_IJLi21EEEEEEENS5_IJNST_IJLi1ELi2ELi3ELi4ELi5EEEES10_S11_S12_S13_S14_NST_IJLi11EEEENST_IJLi12ELi13EEEENST_IJLi14ELi15EEEENST_IJLi16ELi17EEEENST_IJLi18EEEES17_S18_S1A_S19_NST_IJLi23ELi24EEEENST_IJLi25EEEEEEENST_IJLi23ELi25ELi24EEEElEENSB_INS5_IJSR_SP_SP_SR_SG_EEENS5_IJSU_SV_SW_SY_SX_EEENS5_IJNST_IJLi1ELi2EEEESX_SY_NST_IJLi5ELi6EEEES11_EEENST_IJLi5ELi7ELi6EEEElEENSB_INS5_IJSK_SP_SP_EEENS5_IJSU_SV_SW_EEENS5_IJS1P_SX_SY_EEENST_IJLi3ELi4EEEElEELi128ELi128ELi16ELi4ELi4ELi4ELi1ENST_IJLi8ELi2EEEES1Z_NST_IJLi8ELi1ELi1ELi4EEEENST_IJLi2ELi1ELi128ELi1EEEENST_IJLi1ELi2ELi0ELi3EEEES22_NST_IJLi4ELi1ELi1ELi4EEEES22_NST_IJLi1ELi1ELi1ELi4EEEES20_S21_S22_S22_S23_S22_S24_NST_IJLi0ELi1ELi2ELi3ELi4ELi5EEEELi5ELi4EEEaNS5_IJPKaEEEaS8_S8_S9_NSB_INS5_IJSE_SG_SI_SI_SI_SG_SG_SK_SK_SK_SG_SN_SN_SP_SP_SR_SG_SG_NSQ_INS5_IJiNS_17integral_constantIiLi128EEEEEELb0EEENSF_INS2A_IiLi4EEEEEEEENS5_IJSU_SV_SW_SX_SY_SZ_S10_S11_S12_S13_S14_S15_S16_S17_S18_S19_S1A_NST_IJLi23EEEES1J_NST_IJLi24EEEEEEENS5_IJS1C_S10_S11_S12_S13_S14_S1D_S1E_S1F_S1G_S1H_S17_S18_S1A_S19_S1I_S1J_NST_IJLi26EEEENST_IJLi27ELi28EEEENST_IJLi29EEEEEEENST_IJLi26ELi27ELi28ELi29EEEElEENSB_INS5_IJSR_SP_SP_SR_SG_SG_S2D_S2F_EEENS5_IJSU_SV_SW_SY_SX_SZ_S11_S10_EEENS5_IJS1P_SX_SY_S1Q_S11_S12_NST_IJLi9ELi10EEEES1D_EEENST_IJLi8ELi9ELi10ELi11EEEElEENS5_IJNSB_INS5_IJSK_SP_SP_NSQ_INS5_IJiNS2A_IiLi2EEENS2A_IiLi64EEEEEELb0EEES2Z_EEENS5_IJSU_SV_SW_SX_SY_EEENS5_IJS1P_SX_SY_NST_IJLi5ELi6ELi7EEEENST_IJLi8ELi9ELi10EEEEEEENST_IJLi5ELi6ELi7ELi8ELi9ELi10EEEElEEEEES36_NS_31BlockToCTileMap_M00_N00_M01_N01ILi128ELi128ES1Y_Lb0EEENS1_30ComputePtrOffsetOfStridedBatchILi1ELi1ELi1EvEELb1ELb1EEEvPKT0_S3E_T1_PT2_T3_T4_T5_iT6_T7_T8_T9_T10_T11_,"axG",@progbits,_ZN2ck16tensor_operation6device12_GLOBAL__N_137kernel_grouped_conv_fwd_dl_multiple_dINS_32GridwiseGemmDlMultipleD_km_kn_mnILi256EaiNS_5TupleIJaEEEaNS0_12element_wise11PassThroughES8_NS7_7AddReluELNS_25InMemoryDataOperationEnumE0ENS_16TensorDescriptorINS5_IJNS_5EmbedINS5_IJiiiiiEEESD_Lb0EEENS_11PassThroughIiEENS_3PadIiiiLb0EEESI_SI_SG_SG_NSC_INS5_IJiiEEESJ_Lb0EEESK_SK_SG_NS_23Merge_v2_magic_divisionINS5_IJiiiiEEEEESN_NS_8RightPadIiiLb0EEESP_NS_7UnMergeISJ_Lb0EEESG_EEENS5_IJNS_8SequenceIJLi0EEEENST_IJLi1EEEENST_IJLi2EEEENST_IJLi3EEEENST_IJLi4EEEENST_IJLi5EEEENST_IJLi6EEEENST_IJLi7EEEENST_IJLi8EEEENST_IJLi9EEEENST_IJLi10EEEENST_IJLi11ELi13ELi15ELi17EEEENST_IJLi12ELi14ELi16ELi18EEEENST_IJLi19EEEENST_IJLi20EEEENST_IJLi22EEEENST_IJLi21EEEEEEENS5_IJNST_IJLi1ELi2ELi3ELi4ELi5EEEES10_S11_S12_S13_S14_NST_IJLi11EEEENST_IJLi12ELi13EEEENST_IJLi14ELi15EEEENST_IJLi16ELi17EEEENST_IJLi18EEEES17_S18_S1A_S19_NST_IJLi23ELi24EEEENST_IJLi25EEEEEEENST_IJLi23ELi25ELi24EEEElEENSB_INS5_IJSR_SP_SP_SR_SG_EEENS5_IJSU_SV_SW_SY_SX_EEENS5_IJNST_IJLi1ELi2EEEESX_SY_NST_IJLi5ELi6EEEES11_EEENST_IJLi5ELi7ELi6EEEElEENSB_INS5_IJSK_SP_SP_EEENS5_IJSU_SV_SW_EEENS5_IJS1P_SX_SY_EEENST_IJLi3ELi4EEEElEELi128ELi128ELi16ELi4ELi4ELi4ELi1ENST_IJLi8ELi2EEEES1Z_NST_IJLi8ELi1ELi1ELi4EEEENST_IJLi2ELi1ELi128ELi1EEEENST_IJLi1ELi2ELi0ELi3EEEES22_NST_IJLi4ELi1ELi1ELi4EEEES22_NST_IJLi1ELi1ELi1ELi4EEEES20_S21_S22_S22_S23_S22_S24_NST_IJLi0ELi1ELi2ELi3ELi4ELi5EEEELi5ELi4EEEaNS5_IJPKaEEEaS8_S8_S9_NSB_INS5_IJSE_SG_SI_SI_SI_SG_SG_SK_SK_SK_SG_SN_SN_SP_SP_SR_SG_SG_NSQ_INS5_IJiNS_17integral_constantIiLi128EEEEEELb0EEENSF_INS2A_IiLi4EEEEEEEENS5_IJSU_SV_SW_SX_SY_SZ_S10_S11_S12_S13_S14_S15_S16_S17_S18_S19_S1A_NST_IJLi23EEEES1J_NST_IJLi24EEEEEEENS5_IJS1C_S10_S11_S12_S13_S14_S1D_S1E_S1F_S1G_S1H_S17_S18_S1A_S19_S1I_S1J_NST_IJLi26EEEENST_IJLi27ELi28EEEENST_IJLi29EEEEEEENST_IJLi26ELi27ELi28ELi29EEEElEENSB_INS5_IJSR_SP_SP_SR_SG_SG_S2D_S2F_EEENS5_IJSU_SV_SW_SY_SX_SZ_S11_S10_EEENS5_IJS1P_SX_SY_S1Q_S11_S12_NST_IJLi9ELi10EEEES1D_EEENST_IJLi8ELi9ELi10ELi11EEEElEENS5_IJNSB_INS5_IJSK_SP_SP_NSQ_INS5_IJiNS2A_IiLi2EEENS2A_IiLi64EEEEEELb0EEES2Z_EEENS5_IJSU_SV_SW_SX_SY_EEENS5_IJS1P_SX_SY_NST_IJLi5ELi6ELi7EEEENST_IJLi8ELi9ELi10EEEEEEENST_IJLi5ELi6ELi7ELi8ELi9ELi10EEEElEEEEES36_NS_31BlockToCTileMap_M00_N00_M01_N01ILi128ELi128ES1Y_Lb0EEENS1_30ComputePtrOffsetOfStridedBatchILi1ELi1ELi1EvEELb1ELb1EEEvPKT0_S3E_T1_PT2_T3_T4_T5_iT6_T7_T8_T9_T10_T11_,comdat
	.globl	_ZN2ck16tensor_operation6device12_GLOBAL__N_137kernel_grouped_conv_fwd_dl_multiple_dINS_32GridwiseGemmDlMultipleD_km_kn_mnILi256EaiNS_5TupleIJaEEEaNS0_12element_wise11PassThroughES8_NS7_7AddReluELNS_25InMemoryDataOperationEnumE0ENS_16TensorDescriptorINS5_IJNS_5EmbedINS5_IJiiiiiEEESD_Lb0EEENS_11PassThroughIiEENS_3PadIiiiLb0EEESI_SI_SG_SG_NSC_INS5_IJiiEEESJ_Lb0EEESK_SK_SG_NS_23Merge_v2_magic_divisionINS5_IJiiiiEEEEESN_NS_8RightPadIiiLb0EEESP_NS_7UnMergeISJ_Lb0EEESG_EEENS5_IJNS_8SequenceIJLi0EEEENST_IJLi1EEEENST_IJLi2EEEENST_IJLi3EEEENST_IJLi4EEEENST_IJLi5EEEENST_IJLi6EEEENST_IJLi7EEEENST_IJLi8EEEENST_IJLi9EEEENST_IJLi10EEEENST_IJLi11ELi13ELi15ELi17EEEENST_IJLi12ELi14ELi16ELi18EEEENST_IJLi19EEEENST_IJLi20EEEENST_IJLi22EEEENST_IJLi21EEEEEEENS5_IJNST_IJLi1ELi2ELi3ELi4ELi5EEEES10_S11_S12_S13_S14_NST_IJLi11EEEENST_IJLi12ELi13EEEENST_IJLi14ELi15EEEENST_IJLi16ELi17EEEENST_IJLi18EEEES17_S18_S1A_S19_NST_IJLi23ELi24EEEENST_IJLi25EEEEEEENST_IJLi23ELi25ELi24EEEElEENSB_INS5_IJSR_SP_SP_SR_SG_EEENS5_IJSU_SV_SW_SY_SX_EEENS5_IJNST_IJLi1ELi2EEEESX_SY_NST_IJLi5ELi6EEEES11_EEENST_IJLi5ELi7ELi6EEEElEENSB_INS5_IJSK_SP_SP_EEENS5_IJSU_SV_SW_EEENS5_IJS1P_SX_SY_EEENST_IJLi3ELi4EEEElEELi128ELi128ELi16ELi4ELi4ELi4ELi1ENST_IJLi8ELi2EEEES1Z_NST_IJLi8ELi1ELi1ELi4EEEENST_IJLi2ELi1ELi128ELi1EEEENST_IJLi1ELi2ELi0ELi3EEEES22_NST_IJLi4ELi1ELi1ELi4EEEES22_NST_IJLi1ELi1ELi1ELi4EEEES20_S21_S22_S22_S23_S22_S24_NST_IJLi0ELi1ELi2ELi3ELi4ELi5EEEELi5ELi4EEEaNS5_IJPKaEEEaS8_S8_S9_NSB_INS5_IJSE_SG_SI_SI_SI_SG_SG_SK_SK_SK_SG_SN_SN_SP_SP_SR_SG_SG_NSQ_INS5_IJiNS_17integral_constantIiLi128EEEEEELb0EEENSF_INS2A_IiLi4EEEEEEEENS5_IJSU_SV_SW_SX_SY_SZ_S10_S11_S12_S13_S14_S15_S16_S17_S18_S19_S1A_NST_IJLi23EEEES1J_NST_IJLi24EEEEEEENS5_IJS1C_S10_S11_S12_S13_S14_S1D_S1E_S1F_S1G_S1H_S17_S18_S1A_S19_S1I_S1J_NST_IJLi26EEEENST_IJLi27ELi28EEEENST_IJLi29EEEEEEENST_IJLi26ELi27ELi28ELi29EEEElEENSB_INS5_IJSR_SP_SP_SR_SG_SG_S2D_S2F_EEENS5_IJSU_SV_SW_SY_SX_SZ_S11_S10_EEENS5_IJS1P_SX_SY_S1Q_S11_S12_NST_IJLi9ELi10EEEES1D_EEENST_IJLi8ELi9ELi10ELi11EEEElEENS5_IJNSB_INS5_IJSK_SP_SP_NSQ_INS5_IJiNS2A_IiLi2EEENS2A_IiLi64EEEEEELb0EEES2Z_EEENS5_IJSU_SV_SW_SX_SY_EEENS5_IJS1P_SX_SY_NST_IJLi5ELi6ELi7EEEENST_IJLi8ELi9ELi10EEEEEEENST_IJLi5ELi6ELi7ELi8ELi9ELi10EEEElEEEEES36_NS_31BlockToCTileMap_M00_N00_M01_N01ILi128ELi128ES1Y_Lb0EEENS1_30ComputePtrOffsetOfStridedBatchILi1ELi1ELi1EvEELb1ELb1EEEvPKT0_S3E_T1_PT2_T3_T4_T5_iT6_T7_T8_T9_T10_T11_ ; -- Begin function _ZN2ck16tensor_operation6device12_GLOBAL__N_137kernel_grouped_conv_fwd_dl_multiple_dINS_32GridwiseGemmDlMultipleD_km_kn_mnILi256EaiNS_5TupleIJaEEEaNS0_12element_wise11PassThroughES8_NS7_7AddReluELNS_25InMemoryDataOperationEnumE0ENS_16TensorDescriptorINS5_IJNS_5EmbedINS5_IJiiiiiEEESD_Lb0EEENS_11PassThroughIiEENS_3PadIiiiLb0EEESI_SI_SG_SG_NSC_INS5_IJiiEEESJ_Lb0EEESK_SK_SG_NS_23Merge_v2_magic_divisionINS5_IJiiiiEEEEESN_NS_8RightPadIiiLb0EEESP_NS_7UnMergeISJ_Lb0EEESG_EEENS5_IJNS_8SequenceIJLi0EEEENST_IJLi1EEEENST_IJLi2EEEENST_IJLi3EEEENST_IJLi4EEEENST_IJLi5EEEENST_IJLi6EEEENST_IJLi7EEEENST_IJLi8EEEENST_IJLi9EEEENST_IJLi10EEEENST_IJLi11ELi13ELi15ELi17EEEENST_IJLi12ELi14ELi16ELi18EEEENST_IJLi19EEEENST_IJLi20EEEENST_IJLi22EEEENST_IJLi21EEEEEEENS5_IJNST_IJLi1ELi2ELi3ELi4ELi5EEEES10_S11_S12_S13_S14_NST_IJLi11EEEENST_IJLi12ELi13EEEENST_IJLi14ELi15EEEENST_IJLi16ELi17EEEENST_IJLi18EEEES17_S18_S1A_S19_NST_IJLi23ELi24EEEENST_IJLi25EEEEEEENST_IJLi23ELi25ELi24EEEElEENSB_INS5_IJSR_SP_SP_SR_SG_EEENS5_IJSU_SV_SW_SY_SX_EEENS5_IJNST_IJLi1ELi2EEEESX_SY_NST_IJLi5ELi6EEEES11_EEENST_IJLi5ELi7ELi6EEEElEENSB_INS5_IJSK_SP_SP_EEENS5_IJSU_SV_SW_EEENS5_IJS1P_SX_SY_EEENST_IJLi3ELi4EEEElEELi128ELi128ELi16ELi4ELi4ELi4ELi1ENST_IJLi8ELi2EEEES1Z_NST_IJLi8ELi1ELi1ELi4EEEENST_IJLi2ELi1ELi128ELi1EEEENST_IJLi1ELi2ELi0ELi3EEEES22_NST_IJLi4ELi1ELi1ELi4EEEES22_NST_IJLi1ELi1ELi1ELi4EEEES20_S21_S22_S22_S23_S22_S24_NST_IJLi0ELi1ELi2ELi3ELi4ELi5EEEELi5ELi4EEEaNS5_IJPKaEEEaS8_S8_S9_NSB_INS5_IJSE_SG_SI_SI_SI_SG_SG_SK_SK_SK_SG_SN_SN_SP_SP_SR_SG_SG_NSQ_INS5_IJiNS_17integral_constantIiLi128EEEEEELb0EEENSF_INS2A_IiLi4EEEEEEEENS5_IJSU_SV_SW_SX_SY_SZ_S10_S11_S12_S13_S14_S15_S16_S17_S18_S19_S1A_NST_IJLi23EEEES1J_NST_IJLi24EEEEEEENS5_IJS1C_S10_S11_S12_S13_S14_S1D_S1E_S1F_S1G_S1H_S17_S18_S1A_S19_S1I_S1J_NST_IJLi26EEEENST_IJLi27ELi28EEEENST_IJLi29EEEEEEENST_IJLi26ELi27ELi28ELi29EEEElEENSB_INS5_IJSR_SP_SP_SR_SG_SG_S2D_S2F_EEENS5_IJSU_SV_SW_SY_SX_SZ_S11_S10_EEENS5_IJS1P_SX_SY_S1Q_S11_S12_NST_IJLi9ELi10EEEES1D_EEENST_IJLi8ELi9ELi10ELi11EEEElEENS5_IJNSB_INS5_IJSK_SP_SP_NSQ_INS5_IJiNS2A_IiLi2EEENS2A_IiLi64EEEEEELb0EEES2Z_EEENS5_IJSU_SV_SW_SX_SY_EEENS5_IJS1P_SX_SY_NST_IJLi5ELi6ELi7EEEENST_IJLi8ELi9ELi10EEEEEEENST_IJLi5ELi6ELi7ELi8ELi9ELi10EEEElEEEEES36_NS_31BlockToCTileMap_M00_N00_M01_N01ILi128ELi128ES1Y_Lb0EEENS1_30ComputePtrOffsetOfStridedBatchILi1ELi1ELi1EvEELb1ELb1EEEvPKT0_S3E_T1_PT2_T3_T4_T5_iT6_T7_T8_T9_T10_T11_
	.p2align	8
	.type	_ZN2ck16tensor_operation6device12_GLOBAL__N_137kernel_grouped_conv_fwd_dl_multiple_dINS_32GridwiseGemmDlMultipleD_km_kn_mnILi256EaiNS_5TupleIJaEEEaNS0_12element_wise11PassThroughES8_NS7_7AddReluELNS_25InMemoryDataOperationEnumE0ENS_16TensorDescriptorINS5_IJNS_5EmbedINS5_IJiiiiiEEESD_Lb0EEENS_11PassThroughIiEENS_3PadIiiiLb0EEESI_SI_SG_SG_NSC_INS5_IJiiEEESJ_Lb0EEESK_SK_SG_NS_23Merge_v2_magic_divisionINS5_IJiiiiEEEEESN_NS_8RightPadIiiLb0EEESP_NS_7UnMergeISJ_Lb0EEESG_EEENS5_IJNS_8SequenceIJLi0EEEENST_IJLi1EEEENST_IJLi2EEEENST_IJLi3EEEENST_IJLi4EEEENST_IJLi5EEEENST_IJLi6EEEENST_IJLi7EEEENST_IJLi8EEEENST_IJLi9EEEENST_IJLi10EEEENST_IJLi11ELi13ELi15ELi17EEEENST_IJLi12ELi14ELi16ELi18EEEENST_IJLi19EEEENST_IJLi20EEEENST_IJLi22EEEENST_IJLi21EEEEEEENS5_IJNST_IJLi1ELi2ELi3ELi4ELi5EEEES10_S11_S12_S13_S14_NST_IJLi11EEEENST_IJLi12ELi13EEEENST_IJLi14ELi15EEEENST_IJLi16ELi17EEEENST_IJLi18EEEES17_S18_S1A_S19_NST_IJLi23ELi24EEEENST_IJLi25EEEEEEENST_IJLi23ELi25ELi24EEEElEENSB_INS5_IJSR_SP_SP_SR_SG_EEENS5_IJSU_SV_SW_SY_SX_EEENS5_IJNST_IJLi1ELi2EEEESX_SY_NST_IJLi5ELi6EEEES11_EEENST_IJLi5ELi7ELi6EEEElEENSB_INS5_IJSK_SP_SP_EEENS5_IJSU_SV_SW_EEENS5_IJS1P_SX_SY_EEENST_IJLi3ELi4EEEElEELi128ELi128ELi16ELi4ELi4ELi4ELi1ENST_IJLi8ELi2EEEES1Z_NST_IJLi8ELi1ELi1ELi4EEEENST_IJLi2ELi1ELi128ELi1EEEENST_IJLi1ELi2ELi0ELi3EEEES22_NST_IJLi4ELi1ELi1ELi4EEEES22_NST_IJLi1ELi1ELi1ELi4EEEES20_S21_S22_S22_S23_S22_S24_NST_IJLi0ELi1ELi2ELi3ELi4ELi5EEEELi5ELi4EEEaNS5_IJPKaEEEaS8_S8_S9_NSB_INS5_IJSE_SG_SI_SI_SI_SG_SG_SK_SK_SK_SG_SN_SN_SP_SP_SR_SG_SG_NSQ_INS5_IJiNS_17integral_constantIiLi128EEEEEELb0EEENSF_INS2A_IiLi4EEEEEEEENS5_IJSU_SV_SW_SX_SY_SZ_S10_S11_S12_S13_S14_S15_S16_S17_S18_S19_S1A_NST_IJLi23EEEES1J_NST_IJLi24EEEEEEENS5_IJS1C_S10_S11_S12_S13_S14_S1D_S1E_S1F_S1G_S1H_S17_S18_S1A_S19_S1I_S1J_NST_IJLi26EEEENST_IJLi27ELi28EEEENST_IJLi29EEEEEEENST_IJLi26ELi27ELi28ELi29EEEElEENSB_INS5_IJSR_SP_SP_SR_SG_SG_S2D_S2F_EEENS5_IJSU_SV_SW_SY_SX_SZ_S11_S10_EEENS5_IJS1P_SX_SY_S1Q_S11_S12_NST_IJLi9ELi10EEEES1D_EEENST_IJLi8ELi9ELi10ELi11EEEElEENS5_IJNSB_INS5_IJSK_SP_SP_NSQ_INS5_IJiNS2A_IiLi2EEENS2A_IiLi64EEEEEELb0EEES2Z_EEENS5_IJSU_SV_SW_SX_SY_EEENS5_IJS1P_SX_SY_NST_IJLi5ELi6ELi7EEEENST_IJLi8ELi9ELi10EEEEEEENST_IJLi5ELi6ELi7ELi8ELi9ELi10EEEElEEEEES36_NS_31BlockToCTileMap_M00_N00_M01_N01ILi128ELi128ES1Y_Lb0EEENS1_30ComputePtrOffsetOfStridedBatchILi1ELi1ELi1EvEELb1ELb1EEEvPKT0_S3E_T1_PT2_T3_T4_T5_iT6_T7_T8_T9_T10_T11_,@function
_ZN2ck16tensor_operation6device12_GLOBAL__N_137kernel_grouped_conv_fwd_dl_multiple_dINS_32GridwiseGemmDlMultipleD_km_kn_mnILi256EaiNS_5TupleIJaEEEaNS0_12element_wise11PassThroughES8_NS7_7AddReluELNS_25InMemoryDataOperationEnumE0ENS_16TensorDescriptorINS5_IJNS_5EmbedINS5_IJiiiiiEEESD_Lb0EEENS_11PassThroughIiEENS_3PadIiiiLb0EEESI_SI_SG_SG_NSC_INS5_IJiiEEESJ_Lb0EEESK_SK_SG_NS_23Merge_v2_magic_divisionINS5_IJiiiiEEEEESN_NS_8RightPadIiiLb0EEESP_NS_7UnMergeISJ_Lb0EEESG_EEENS5_IJNS_8SequenceIJLi0EEEENST_IJLi1EEEENST_IJLi2EEEENST_IJLi3EEEENST_IJLi4EEEENST_IJLi5EEEENST_IJLi6EEEENST_IJLi7EEEENST_IJLi8EEEENST_IJLi9EEEENST_IJLi10EEEENST_IJLi11ELi13ELi15ELi17EEEENST_IJLi12ELi14ELi16ELi18EEEENST_IJLi19EEEENST_IJLi20EEEENST_IJLi22EEEENST_IJLi21EEEEEEENS5_IJNST_IJLi1ELi2ELi3ELi4ELi5EEEES10_S11_S12_S13_S14_NST_IJLi11EEEENST_IJLi12ELi13EEEENST_IJLi14ELi15EEEENST_IJLi16ELi17EEEENST_IJLi18EEEES17_S18_S1A_S19_NST_IJLi23ELi24EEEENST_IJLi25EEEEEEENST_IJLi23ELi25ELi24EEEElEENSB_INS5_IJSR_SP_SP_SR_SG_EEENS5_IJSU_SV_SW_SY_SX_EEENS5_IJNST_IJLi1ELi2EEEESX_SY_NST_IJLi5ELi6EEEES11_EEENST_IJLi5ELi7ELi6EEEElEENSB_INS5_IJSK_SP_SP_EEENS5_IJSU_SV_SW_EEENS5_IJS1P_SX_SY_EEENST_IJLi3ELi4EEEElEELi128ELi128ELi16ELi4ELi4ELi4ELi1ENST_IJLi8ELi2EEEES1Z_NST_IJLi8ELi1ELi1ELi4EEEENST_IJLi2ELi1ELi128ELi1EEEENST_IJLi1ELi2ELi0ELi3EEEES22_NST_IJLi4ELi1ELi1ELi4EEEES22_NST_IJLi1ELi1ELi1ELi4EEEES20_S21_S22_S22_S23_S22_S24_NST_IJLi0ELi1ELi2ELi3ELi4ELi5EEEELi5ELi4EEEaNS5_IJPKaEEEaS8_S8_S9_NSB_INS5_IJSE_SG_SI_SI_SI_SG_SG_SK_SK_SK_SG_SN_SN_SP_SP_SR_SG_SG_NSQ_INS5_IJiNS_17integral_constantIiLi128EEEEEELb0EEENSF_INS2A_IiLi4EEEEEEEENS5_IJSU_SV_SW_SX_SY_SZ_S10_S11_S12_S13_S14_S15_S16_S17_S18_S19_S1A_NST_IJLi23EEEES1J_NST_IJLi24EEEEEEENS5_IJS1C_S10_S11_S12_S13_S14_S1D_S1E_S1F_S1G_S1H_S17_S18_S1A_S19_S1I_S1J_NST_IJLi26EEEENST_IJLi27ELi28EEEENST_IJLi29EEEEEEENST_IJLi26ELi27ELi28ELi29EEEElEENSB_INS5_IJSR_SP_SP_SR_SG_SG_S2D_S2F_EEENS5_IJSU_SV_SW_SY_SX_SZ_S11_S10_EEENS5_IJS1P_SX_SY_S1Q_S11_S12_NST_IJLi9ELi10EEEES1D_EEENST_IJLi8ELi9ELi10ELi11EEEElEENS5_IJNSB_INS5_IJSK_SP_SP_NSQ_INS5_IJiNS2A_IiLi2EEENS2A_IiLi64EEEEEELb0EEES2Z_EEENS5_IJSU_SV_SW_SX_SY_EEENS5_IJS1P_SX_SY_NST_IJLi5ELi6ELi7EEEENST_IJLi8ELi9ELi10EEEEEEENST_IJLi5ELi6ELi7ELi8ELi9ELi10EEEElEEEEES36_NS_31BlockToCTileMap_M00_N00_M01_N01ILi128ELi128ES1Y_Lb0EEENS1_30ComputePtrOffsetOfStridedBatchILi1ELi1ELi1EvEELb1ELb1EEEvPKT0_S3E_T1_PT2_T3_T4_T5_iT6_T7_T8_T9_T10_T11_: ; @_ZN2ck16tensor_operation6device12_GLOBAL__N_137kernel_grouped_conv_fwd_dl_multiple_dINS_32GridwiseGemmDlMultipleD_km_kn_mnILi256EaiNS_5TupleIJaEEEaNS0_12element_wise11PassThroughES8_NS7_7AddReluELNS_25InMemoryDataOperationEnumE0ENS_16TensorDescriptorINS5_IJNS_5EmbedINS5_IJiiiiiEEESD_Lb0EEENS_11PassThroughIiEENS_3PadIiiiLb0EEESI_SI_SG_SG_NSC_INS5_IJiiEEESJ_Lb0EEESK_SK_SG_NS_23Merge_v2_magic_divisionINS5_IJiiiiEEEEESN_NS_8RightPadIiiLb0EEESP_NS_7UnMergeISJ_Lb0EEESG_EEENS5_IJNS_8SequenceIJLi0EEEENST_IJLi1EEEENST_IJLi2EEEENST_IJLi3EEEENST_IJLi4EEEENST_IJLi5EEEENST_IJLi6EEEENST_IJLi7EEEENST_IJLi8EEEENST_IJLi9EEEENST_IJLi10EEEENST_IJLi11ELi13ELi15ELi17EEEENST_IJLi12ELi14ELi16ELi18EEEENST_IJLi19EEEENST_IJLi20EEEENST_IJLi22EEEENST_IJLi21EEEEEEENS5_IJNST_IJLi1ELi2ELi3ELi4ELi5EEEES10_S11_S12_S13_S14_NST_IJLi11EEEENST_IJLi12ELi13EEEENST_IJLi14ELi15EEEENST_IJLi16ELi17EEEENST_IJLi18EEEES17_S18_S1A_S19_NST_IJLi23ELi24EEEENST_IJLi25EEEEEEENST_IJLi23ELi25ELi24EEEElEENSB_INS5_IJSR_SP_SP_SR_SG_EEENS5_IJSU_SV_SW_SY_SX_EEENS5_IJNST_IJLi1ELi2EEEESX_SY_NST_IJLi5ELi6EEEES11_EEENST_IJLi5ELi7ELi6EEEElEENSB_INS5_IJSK_SP_SP_EEENS5_IJSU_SV_SW_EEENS5_IJS1P_SX_SY_EEENST_IJLi3ELi4EEEElEELi128ELi128ELi16ELi4ELi4ELi4ELi1ENST_IJLi8ELi2EEEES1Z_NST_IJLi8ELi1ELi1ELi4EEEENST_IJLi2ELi1ELi128ELi1EEEENST_IJLi1ELi2ELi0ELi3EEEES22_NST_IJLi4ELi1ELi1ELi4EEEES22_NST_IJLi1ELi1ELi1ELi4EEEES20_S21_S22_S22_S23_S22_S24_NST_IJLi0ELi1ELi2ELi3ELi4ELi5EEEELi5ELi4EEEaNS5_IJPKaEEEaS8_S8_S9_NSB_INS5_IJSE_SG_SI_SI_SI_SG_SG_SK_SK_SK_SG_SN_SN_SP_SP_SR_SG_SG_NSQ_INS5_IJiNS_17integral_constantIiLi128EEEEEELb0EEENSF_INS2A_IiLi4EEEEEEEENS5_IJSU_SV_SW_SX_SY_SZ_S10_S11_S12_S13_S14_S15_S16_S17_S18_S19_S1A_NST_IJLi23EEEES1J_NST_IJLi24EEEEEEENS5_IJS1C_S10_S11_S12_S13_S14_S1D_S1E_S1F_S1G_S1H_S17_S18_S1A_S19_S1I_S1J_NST_IJLi26EEEENST_IJLi27ELi28EEEENST_IJLi29EEEEEEENST_IJLi26ELi27ELi28ELi29EEEElEENSB_INS5_IJSR_SP_SP_SR_SG_SG_S2D_S2F_EEENS5_IJSU_SV_SW_SY_SX_SZ_S11_S10_EEENS5_IJS1P_SX_SY_S1Q_S11_S12_NST_IJLi9ELi10EEEES1D_EEENST_IJLi8ELi9ELi10ELi11EEEElEENS5_IJNSB_INS5_IJSK_SP_SP_NSQ_INS5_IJiNS2A_IiLi2EEENS2A_IiLi64EEEEEELb0EEES2Z_EEENS5_IJSU_SV_SW_SX_SY_EEENS5_IJS1P_SX_SY_NST_IJLi5ELi6ELi7EEEENST_IJLi8ELi9ELi10EEEEEEENST_IJLi5ELi6ELi7ELi8ELi9ELi10EEEElEEEEES36_NS_31BlockToCTileMap_M00_N00_M01_N01ILi128ELi128ES1Y_Lb0EEENS1_30ComputePtrOffsetOfStridedBatchILi1ELi1ELi1EvEELb1ELb1EEEvPKT0_S3E_T1_PT2_T3_T4_T5_iT6_T7_T8_T9_T10_T11_
; %bb.0:
	s_clause 0x3
	s_load_b32 s2, s[0:1], 0x24
	s_load_b128 s[44:47], s[0:1], 0x3c
	s_load_b32 s92, s[0:1], 0x4c
	s_load_b32 s4, s[0:1], 0x300
	s_mov_b32 s48, 0
	s_clause 0x2
	s_load_b128 s[72:75], s[0:1], 0x0
	s_load_b64 s[84:85], s[0:1], 0x18
	s_load_b256 s[16:23], s[0:1], 0x54
	s_mov_b32 s51, s48
	s_load_b128 s[80:83], s[0:1], 0x2c0
	s_mov_b64 s[52:53], src_shared_base
	v_lshrrev_b32_e32 v22, 1, v0
	v_lshrrev_b32_e32 v6, 5, v0
	s_mov_b32 s55, 0x31004000
	s_movk_i32 s32, 0x1e0
	s_mov_b32 s59, s55
	v_mov_b32_e32 v34, 0
	v_lshlrev_b32_e32 v10, 6, v6
	v_lshlrev_b32_e32 v2, 3, v0
	v_lshlrev_b32_e32 v8, 1, v0
	v_lshlrev_b32_e32 v0, 2, v0
	v_mov_b32_e32 v36, v34
	s_waitcnt lgkmcnt(0)
	s_abs_i32 s3, s2
	v_and_b32_e32 v23, 8, v2
	v_cvt_f32_u32_e32 v1, s3
	s_sub_i32 s6, 0, s3
	s_abs_i32 s7, s4
	s_xor_b32 s2, s4, s2
	v_mov_b32_e32 v5, v34
	v_rcp_iflag_f32_e32 v1, v1
	s_ashr_i32 s2, s2, 31
	v_dual_mov_b32 v7, v34 :: v_dual_and_b32 v14, 0x1f8, v8
	v_dual_mov_b32 v9, v34 :: v_dual_and_b32 v8, 0x1fc, v8
	v_mov_b32_e32 v16, v34
	v_mov_b32_e32 v11, v34
	v_mov_b32_e32 v13, v34
	v_sub_nc_u32_e32 v10, v14, v10
	s_delay_alu instid0(TRANS32_DEP_1) | instskip(SKIP_1) | instid1(VALU_DEP_2)
	v_mul_f32_e32 v1, 0x4f7ffffe, v1
	v_sub_nc_u32_e32 v8, v8, v14
	v_cvt_u32_f32_e32 v1, v1
	s_delay_alu instid0(VALU_DEP_2) | instskip(NEXT) | instid1(VALU_DEP_2)
	v_lshl_add_u32 v35, v6, 3, v8
	v_readfirstlane_b32 s5, v1
	s_delay_alu instid0(VALU_DEP_1) | instskip(NEXT) | instid1(SALU_CYCLE_1)
	s_mul_i32 s6, s6, s5
	s_mul_hi_u32 s6, s5, s6
	s_delay_alu instid0(SALU_CYCLE_1) | instskip(NEXT) | instid1(SALU_CYCLE_1)
	s_add_i32 s5, s5, s6
	s_mul_hi_u32 s5, s7, s5
	s_delay_alu instid0(SALU_CYCLE_1) | instskip(SKIP_2) | instid1(SALU_CYCLE_1)
	s_mul_i32 s4, s5, s3
	s_add_i32 s6, s5, 1
	s_sub_i32 s4, s7, s4
	s_sub_i32 s7, s4, s3
	s_cmp_ge_u32 s4, s3
	s_cselect_b32 s5, s6, s5
	s_cselect_b32 s4, s7, s4
	s_add_i32 s6, s5, 1
	s_cmp_ge_u32 s4, s3
	s_cselect_b32 s3, s6, s5
	s_clause 0x5
	s_load_b64 s[88:89], s[0:1], 0x88
	s_load_b64 s[86:87], s[0:1], 0x98
	;; [unrolled: 1-line block ×3, first 2 shown]
	s_load_b256 s[4:11], s[0:1], 0xb8
	s_load_b128 s[64:67], s[0:1], 0xd8
	s_load_b256 s[36:43], s[0:1], 0xec
	s_xor_b32 s3, s3, s2
	s_waitcnt lgkmcnt(0)
	s_abs_i32 s43, s15
	s_sub_i32 s3, s3, s2
	s_clause 0x3
	s_load_b128 s[60:63], s[0:1], 0x10c
	s_load_b32 s12, s[0:1], 0x120
	s_load_b32 s93, s[0:1], 0x12c
	s_load_b32 s11, s[0:1], 0x13c
	s_abs_i32 s2, s3
	s_xor_b32 s3, s15, s3
	v_cvt_f32_u32_e32 v1, s2
	s_sub_i32 s14, 0, s2
	s_ashr_i32 s3, s3, 31
	s_clause 0x8
	s_load_b32 s54, s[0:1], 0x160
	s_load_b32 s7, s[0:1], 0x170
	;; [unrolled: 1-line block ×6, first 2 shown]
	s_load_b64 s[34:35], s[0:1], 0x1d0
	s_load_b32 s33, s[0:1], 0x27c
	s_load_b32 s39, s[0:1], 0x28c
	v_rcp_iflag_f32_e32 v1, v1
	s_clause 0x1
	s_load_b128 s[68:71], s[0:1], 0x298
	s_load_b128 s[76:79], s[0:1], 0x2ac
	s_mov_b32 s67, 64
	s_waitcnt_depctr 0xfff
	v_mul_f32_e32 v1, 0x4f7ffffe, v1
	s_waitcnt lgkmcnt(0)
	v_mul_lo_u32 v24, s11, v23
	s_delay_alu instid0(VALU_DEP_2) | instskip(SKIP_1) | instid1(VALU_DEP_2)
	v_cvt_u32_f32_e32 v1, v1
	v_mul_lo_u32 v26, s97, v23
	v_readfirstlane_b32 s24, v1
	v_mov_b32_e32 v1, v34
	v_and_or_b32 v37, v0, 4, v10
	v_mul_hi_u32 v2, v24, s42
	v_mov_b32_e32 v3, v34
	s_mul_i32 s14, s14, s24
	s_delay_alu instid0(SALU_CYCLE_1)
	s_mul_hi_u32 s14, s24, s14
	v_lshlrev_b32_e32 v8, 2, v37
	s_add_i32 s14, s24, s14
	s_load_b256 s[24:31], s[0:1], 0x2d8
	s_mul_hi_u32 s14, s43, s14
	v_mov_b32_e32 v14, v37
	s_mul_i32 s49, s14, s2
	v_add_nc_u32_e32 v2, v24, v2
	s_sub_i32 s43, s43, s49
	s_add_i32 s49, s14, 1
	s_sub_i32 s50, s43, s2
	s_cmp_ge_u32 s43, s2
	v_lshrrev_b32_e32 v18, s62, v2
	s_cselect_b32 s14, s49, s14
	s_cselect_b32 s43, s50, s43
	s_add_i32 s50, s14, 1
	s_cmp_ge_u32 s43, s2
	s_mov_b32 s49, s48
	s_cselect_b32 s2, s50, s14
	s_mov_b32 s50, s48
	s_xor_b32 s2, s2, s3
	v_mov_b32_e32 v38, s48
	s_sub_i32 s95, s2, s3
	v_mov_b32_e32 v39, s49
	s_ashr_i32 s96, s95, 31
	s_waitcnt lgkmcnt(0)
	s_mul_hi_u32 s2, s24, s95
	s_mul_i32 s14, s24, s95
	s_mul_i32 s24, s24, s96
	;; [unrolled: 1-line block ×3, first 2 shown]
	s_mul_hi_u32 s25, s26, s95
	s_mul_hi_u32 s43, s30, s95
	s_mul_i32 s52, s26, s96
	s_add_i32 s2, s2, s24
	s_mul_i32 s24, s30, s96
	s_add_i32 s25, s25, s52
	;; [unrolled: 2-line block ×4, first 2 shown]
	s_add_i32 s25, s25, s27
	s_add_i32 s24, s24, s31
	s_add_u32 s52, s72, s14
	v_dual_mov_b32 v17, s53 :: v_dual_mov_b32 v40, s50
	s_addc_u32 s53, s73, s2
	s_mul_i32 s2, s26, s95
	v_mov_b32_e32 v41, s51
	s_add_u32 s56, s74, s2
	s_mul_hi_u32 s2, s79, s15
	s_addc_u32 s57, s75, s25
	s_add_i32 s2, s15, s2
	s_clause 0x5
	scratch_store_b128 off, v[38:41], off offset:144
	scratch_store_b128 off, v[38:41], off offset:160
	;; [unrolled: 1-line block ×6, first 2 shown]
	s_lshr_b32 s2, s2, s83
	s_clause 0x1
	scratch_store_b128 off, v[38:41], off offset:240
	scratch_store_b128 off, v[38:41], off offset:256
	s_mul_hi_u32 s3, s2, s78
	v_mul_hi_u32 v2, v18, s41
	s_add_i32 s3, s2, s3
	s_clause 0x1
	scratch_store_b128 off, v[38:41], off offset:272
	scratch_store_b128 off, v[38:41], off offset:288
	s_lshr_b32 s3, s3, s82
	s_clause 0x1
	scratch_store_b128 off, v[38:41], off offset:304
	scratch_store_b128 off, v[38:41], off offset:320
	s_mul_hi_u32 s14, s3, s77
	s_mul_i32 s26, s3, s70
	s_add_i32 s14, s3, s14
	s_sub_i32 s49, s2, s26
	s_lshr_b32 s14, s14, s81
	v_add_nc_u32_e32 v2, v18, v2
	s_mul_hi_u32 s25, s14, s76
	s_clause 0x1
	scratch_store_b128 off, v[38:41], off offset:336
	scratch_store_b128 off, v[38:41], off offset:352
	s_add_i32 s25, s14, s25
	s_clause 0x1
	scratch_store_b128 off, v[38:41], off offset:368
	scratch_store_b128 off, v[38:41], off offset:384
	s_lshr_b32 s25, s25, s80
	v_lshrrev_b32_e32 v20, s61, v2
	s_mul_i32 s25, s25, s68
	s_clause 0x1
	scratch_store_b64 off, v[16:17], off offset:400
	scratch_store_b8 off, v34, off offset:409
	s_sub_i32 s25, s14, s25
	v_mov_b32_e32 v16, 0x4000
	s_mul_i32 s25, s25, s33
	v_mul_hi_u32 v10, v20, s40
	s_add_i32 s49, s49, s25
	v_mov_b32_e32 v4, v34
	v_lshl_or_b32 v25, s49, 7, v22
	scratch_store_b64 off, v[16:17], off offset:416
	v_mov_b32_e32 v16, 0x2000
	v_mov_b32_e32 v2, v35
	s_lshl_b32 s76, s11, 2
	v_mul_hi_u32 v19, v25, s10
	v_mov_b32_e32 v15, v34
	v_add_nc_u32_e32 v27, v20, v10
	v_add_nc_u32_e32 v44, s76, v24
	scratch_store_b64 off, v[16:17], off offset:432
	s_lshl_b32 s25, s97, 2
	s_delay_alu instid0(SALU_CYCLE_1)
	v_dual_mov_b32 v6, v35 :: v_dual_add_nc_u32 v45, s25, v26
	v_add_nc_u32_e32 v0, v25, v19
	v_lshrrev_b32_e32 v27, s60, v27
	v_mov_b32_e32 v10, v37
	v_mul_lo_u32 v28, v20, s37
	s_mul_i32 s2, s2, s71
	v_lshrrev_b32_e32 v19, s66, v0
	v_lshlrev_b32_e32 v0, 2, v35
	s_clause 0x1
	scratch_store_b128 off, v[34:37], off offset:64
	scratch_store_b128 off, v[0:3], off offset:80
	v_mul_hi_u32 v21, v19, s9
	v_mov_b32_e32 v12, v34
	v_mul_lo_u32 v1, v27, s36
	v_mul_hi_u32 v2, v44, s42
	s_clause 0x1
	scratch_store_b128 off, v[4:7], off offset:96
	scratch_store_b128 off, v[8:11], off offset:112
	v_sub_nc_u32_e32 v28, v18, v28
	v_mul_lo_u32 v6, v19, s6
	v_mul_lo_u32 v4, v18, s38
	v_add_nc_u32_e32 v21, v19, v21
	s_mul_i32 s14, s14, s69
	v_sub_nc_u32_e32 v5, v20, v1
	v_add_nc_u32_e32 v2, v44, v2
	v_mul_lo_u32 v0, v28, s90
	v_lshrrev_b32_e32 v3, s65, v21
	v_sub_nc_u32_e32 v6, v25, v6
	s_sub_i32 s63, s15, s2
	v_lshrrev_b32_e32 v2, s62, v2
	s_sub_i32 s2, s3, s14
	v_mul_hi_u32 v1, v3, s8
	v_mul_lo_u32 v8, v3, s5
	s_mul_i32 s2, s2, s39
	v_mul_hi_u32 v9, v2, s41
	v_mov_b32_e32 v16, 0x6000
	scratch_store_b128 off, v[12:15], off offset:128
	s_add_i32 s63, s63, s2
	v_sub_nc_u32_e32 v4, v24, v4
	v_add_nc_u32_e32 v7, v3, v1
	v_mul_lo_u32 v1, v5, s86
	v_sub_nc_u32_e32 v8, v19, v8
	v_lshl_or_b32 v29, s63, 7, v22
	v_cmp_gt_i32_e64 s3, s93, v24
	v_lshrrev_b32_e32 v7, s64, v7
	s_sub_i32 s21, s19, s21
	s_sub_i32 s16, s16, s18
	v_mul_lo_u32 v36, v29, s7
	v_mad_u64_u32 v[18:19], null, v6, s91, v[0:1]
	v_mul_lo_u32 v10, v7, s4
	v_mad_u64_u32 v[19:20], null, v8, s87, v[1:2]
	v_add_nc_u32_e32 v1, v2, v9
	v_mul_lo_u32 v0, v27, s88
	v_mul_lo_u32 v9, v2, s38
	;; [unrolled: 1-line block ×3, first 2 shown]
	s_clause 0x3
	scratch_store_b8 off, v34, off offset:425
	scratch_store_b8 off, v34, off offset:441
	scratch_store_b64 off, v[16:17], off offset:448
	scratch_store_b8 off, v34, off offset:457
	v_sub_nc_u32_e32 v3, v3, v10
	v_lshrrev_b32_e32 v6, s61, v1
	v_subrev_nc_u32_e32 v1, s23, v18
	v_subrev_nc_u32_e32 v8, s20, v19
	v_add_nc_u32_e32 v10, v36, v26
	v_sub_nc_u32_e32 v66, v44, v9
	v_mul_lo_u32 v12, v6, s37
	v_mad_u64_u32 v[20:21], null, v3, s89, v[0:1]
	v_mul_hi_u32 v0, v6, s40
	v_mul_lo_u32 v3, v4, s92
	v_mul_lo_u32 v1, v1, s47
	;; [unrolled: 1-line block ×3, first 2 shown]
	v_cmp_le_i32_e32 vcc_lo, s23, v18
	v_sub_nc_u32_e32 v61, v2, v12
	v_subrev_nc_u32_e32 v11, s17, v20
	v_cmp_gt_i32_e64 s4, s93, v44
	v_add_nc_u32_e32 v0, v6, v0
	s_mov_b64 s[50:51], src_private_base
	v_sub_nc_u32_e32 v12, v61, v28
	v_mul_lo_u32 v11, v11, s45
	v_add3_u32 v8, v1, v3, v8
	v_lshrrev_b32_e32 v59, s60, v0
	buffer_load_b128 v[0:3], v10, s[56:59], 0 offen
	v_mul_lo_u32 v17, v12, s90
	s_movk_i32 s50, 0x90
	s_movk_i32 s73, 0x190
	v_mul_lo_u32 v7, v59, s36
	v_sub_nc_u32_e32 v9, v59, v27
	v_add3_u32 v12, v8, v13, v11
	s_movk_i32 s72, 0x1a0
	s_movk_i32 s68, 0x1b0
	v_mul_lo_u32 v14, v17, s47
	v_mul_lo_u32 v16, v9, s88
	v_add_nc_u32_e32 v63, v18, v17
	v_sub_nc_u32_e32 v64, v6, v7
	v_add_nc_u32_e32 v6, s25, v10
	v_sub_nc_u32_e32 v10, v66, v4
	v_or_b32_e32 v17, 32, v23
	s_movk_i32 s66, 0x1c0
	v_sub_nc_u32_e32 v9, v64, v5
	v_mul_lo_u32 v13, v16, s45
	v_mul_lo_u32 v15, v10, s92
	buffer_load_b128 v[4:7], v6, s[56:59], 0 offen
	v_add_nc_u32_e32 v62, v20, v16
	v_mul_lo_u32 v21, v9, s86
	buffer_load_b128 v[8:11], v12, s[52:55], 0 offen
	v_lshlrev_b32_e32 v16, 2, v22
	v_mul_lo_u32 v47, s11, v17
	v_mul_lo_u32 v51, s97, v17
	v_add3_u32 v13, v14, v15, v13
	s_mov_b32 s80, 0
	v_lshl_or_b32 v34, v23, 9, v16
	v_mul_lo_u32 v27, v21, s46
	v_add_nc_u32_e32 v60, v19, v21
	v_or_b32_e32 v16, 36, v23
	v_mov_b32_e32 v55, v47
	s_mov_b32 s81, 32
	s_mov_b32 s69, s51
	v_cmp_le_i32_e64 s6, s20, v60
	v_cmp_gt_i32_e64 s7, s21, v60
	v_add3_u32 v65, v13, v27, v12
	v_mul_lo_u32 v46, s11, v16
	v_mul_lo_u32 v50, s97, v16
	s_mov_b32 s75, s51
	s_mov_b32 s74, s51
	buffer_load_b128 v[12:15], v65, s[52:55], 0 offen
	s_clause 0x5
	s_load_b32 s2, s[0:1], 0x74
	s_load_b32 s8, s[0:1], 0x148
	;; [unrolled: 1-line block ×6, first 2 shown]
	s_mov_b32 s71, s51
	v_mov_b32_e32 v54, v46
	s_mov_b32 s70, s51
	s_mov_b32 s82, s51
	;; [unrolled: 1-line block ×6, first 2 shown]
	s_mul_i32 s79, s11, 12
	s_mul_i32 s41, s30, s95
	s_lshl_b32 s91, s11, 5
	s_lshl_b32 s98, s97, 5
	s_sub_i32 s99, 0, s38
	s_waitcnt lgkmcnt(0)
	s_sub_i32 s22, s22, s2
	s_sub_i32 s89, s8, 32
	v_cmp_gt_i32_e64 s2, s22, v18
	v_or_b32_e32 v18, 20, v23
	s_delay_alu instid0(VALU_DEP_2)
	s_and_b32 s5, vcc_lo, s2
	v_cmp_le_i32_e32 vcc_lo, s23, v63
	v_cmp_gt_i32_e64 s2, s22, v63
	s_and_b32 s9, s3, s5
	v_cmp_le_i32_e64 s3, s20, v19
	v_cmp_gt_i32_e64 s5, s21, v19
	v_or_b32_e32 v19, 16, v23
	s_and_b32 s2, vcc_lo, s2
	v_cmp_le_i32_e32 vcc_lo, s17, v20
	s_and_b32 s4, s4, s2
	v_cmp_gt_i32_e64 s2, s16, v20
	s_and_b32 s3, s3, s5
	s_and_b32 s5, s6, s7
	;; [unrolled: 1-line block ×4, first 2 shown]
	s_and_b32 s5, vcc_lo, s2
	v_cmp_le_i32_e32 vcc_lo, s17, v62
	v_cmp_gt_i32_e64 s2, s16, v62
	s_and_b32 s5, s3, s5
	v_mul_lo_u32 v48, s11, v18
	v_mul_lo_u32 v49, s11, v19
	;; [unrolled: 1-line block ×3, first 2 shown]
	s_and_b32 s3, vcc_lo, s2
	v_cmp_gt_i32_e32 vcc_lo, s94, v26
	v_cmp_gt_i32_e64 s2, s13, v29
	s_and_b32 s4, s4, s3
	v_cmp_gt_i32_e64 s3, s12, v25
	v_mul_lo_u32 v53, s97, v19
	v_mov_b32_e32 v56, v48
	s_and_b32 vcc_lo, vcc_lo, s2
	v_mov_b32_e32 v57, v49
	s_waitcnt vmcnt(3)
	v_dual_cndmask_b32 v3, 0, v3 :: v_dual_cndmask_b32 v2, 0, v2
	v_dual_cndmask_b32 v1, 0, v1 :: v_dual_cndmask_b32 v0, 0, v0
	v_cmp_gt_i32_e32 vcc_lo, s94, v45
	s_delay_alu instid0(VALU_DEP_3) | instskip(NEXT) | instid1(VALU_DEP_3)
	v_perm_b32 v2, v2, v2, 0x3020104
	v_perm_b32 v0, v0, v0, 0x3020104
	s_and_b32 vcc_lo, vcc_lo, s2
	ds_store_2addr_stride64_b32 v34, v0, v1 offset0:64 offset1:66
	ds_store_2addr_stride64_b32 v34, v2, v3 offset0:68 offset1:70
	s_waitcnt vmcnt(2)
	v_dual_cndmask_b32 v7, 0, v7 :: v_dual_cndmask_b32 v6, 0, v6
	v_dual_cndmask_b32 v5, 0, v5 :: v_dual_cndmask_b32 v4, 0, v4
	s_and_b32 vcc_lo, s3, s5
	s_waitcnt vmcnt(1)
	v_dual_cndmask_b32 v11, 0, v11 :: v_dual_cndmask_b32 v10, 0, v10
	v_dual_cndmask_b32 v9, 0, v9 :: v_dual_cndmask_b32 v8, 0, v8
	s_and_b32 vcc_lo, s3, s4
	v_perm_b32 v4, v4, v4, 0x3020104
	v_perm_b32 v0, v6, v6, 0x3020104
	;; [unrolled: 1-line block ×4, first 2 shown]
	v_mov_b32_e32 v58, v44
	ds_store_2addr_stride64_b32 v34, v4, v5 offset0:72 offset1:74
	s_getpc_b64 s[64:65]
	s_add_u32 s64, s64, _ZNK2ck6detail15static_for_implINS_8SequenceIJLi1ELi2ELi3ELi4ELi5ELi6ELi7ELi8ELi9ELi10ELi11ELi12ELi13ELi14ELi15EEEEEclIZNKS_80BlockwiseGemmDl_A_BK0_BM_BK1_B_BK0_BN_BK1_C_BM0_BM1_BN0_BN1_pipeline_BM0_2_BN0_2ILi256EaaiKNS_16TensorDescriptorINS_5TupleIJNS_5EmbedINS8_IJNS_17integral_constantIiLi16EEENSA_IiLi128EEENSA_IiLi4EEEEEENS8_IJNSA_IiLi512EEESD_NSA_IiLi1EEEEEELb0EEEEEENS8_IJNS2_IJLi0EEEEEEENS8_IJNS2_IJLi1ELi2ELi3EEEEEEESM_NSA_IlLl8192EEEEESQ_Li4ELi4ELi1ENS2_IJLi8ELi2EEEESR_Li4ELi4ELb0EE3RunINS7_INS8_IJNS_7UnMergeINS8_IJNSA_IiLi2EEESD_SV_SD_EEELb0EEEEEESL_NS8_IJNS2_IJLi1ELi2ELi3ELi4EEEEEEESZ_NSA_IlLl64EEEEENS_13DynamicBufferILNS_16AddressSpaceEnumE2EaSO_Lb1ELNS_22AmdBufferCoherenceEnumE0EiEES16_NS_12StaticBufferILS14_4EiLi64ELb1EEEEEvRKT_RKT0_RKT1_RT2_EUlS19_E_EEvS19_@rel32@lo+4
	s_addc_u32 s65, s65, _ZNK2ck6detail15static_for_implINS_8SequenceIJLi1ELi2ELi3ELi4ELi5ELi6ELi7ELi8ELi9ELi10ELi11ELi12ELi13ELi14ELi15EEEEEclIZNKS_80BlockwiseGemmDl_A_BK0_BM_BK1_B_BK0_BN_BK1_C_BM0_BM1_BN0_BN1_pipeline_BM0_2_BN0_2ILi256EaaiKNS_16TensorDescriptorINS_5TupleIJNS_5EmbedINS8_IJNS_17integral_constantIiLi16EEENSA_IiLi128EEENSA_IiLi4EEEEEENS8_IJNSA_IiLi512EEESD_NSA_IiLi1EEEEEELb0EEEEEENS8_IJNS2_IJLi0EEEEEEENS8_IJNS2_IJLi1ELi2ELi3EEEEEEESM_NSA_IlLl8192EEEEESQ_Li4ELi4ELi1ENS2_IJLi8ELi2EEEESR_Li4ELi4ELb0EE3RunINS7_INS8_IJNS_7UnMergeINS8_IJNSA_IiLi2EEESD_SV_SD_EEELb0EEEEEESL_NS8_IJNS2_IJLi1ELi2ELi3ELi4EEEEEEESZ_NSA_IlLl64EEEEENS_13DynamicBufferILNS_16AddressSpaceEnumE2EaSO_Lb1ELNS_22AmdBufferCoherenceEnumE0EiEES16_NS_12StaticBufferILS14_4EiLi64ELb1EEEEEvRKT_RKT0_RKT1_RT2_EUlS19_E_EEvS19_@rel32@hi+12
	s_waitcnt vmcnt(0)
	v_dual_cndmask_b32 v13, 0, v13 :: v_dual_cndmask_b32 v12, 0, v12
	v_dual_cndmask_b32 v14, 0, v14 :: v_dual_cndmask_b32 v15, 0, v15
	s_delay_alu instid0(VALU_DEP_2) | instskip(NEXT) | instid1(VALU_DEP_2)
	v_perm_b32 v3, v12, v12, 0x3020104
	v_perm_b32 v4, v14, v14, 0x3020104
	ds_store_2addr_stride64_b32 v34, v0, v7 offset0:76 offset1:78
	ds_store_2addr_stride64_b32 v34, v1, v9 offset1:2
	ds_store_2addr_stride64_b32 v34, v2, v11 offset0:4 offset1:6
	ds_store_2addr_stride64_b32 v34, v3, v13 offset0:8 offset1:10
	;; [unrolled: 1-line block ×3, first 2 shown]
	s_clause 0x2
	s_load_b64 s[18:19], s[0:1], 0x220
	s_load_b64 s[26:27], s[0:1], 0x210
	;; [unrolled: 1-line block ×3, first 2 shown]
.LBB10_1:                               ; =>This Inner Loop Header: Depth=1
	v_mul_hi_u32 v0, s42, v57
	v_add_nc_u32_e32 v33, s48, v49
	v_mul_hi_u32 v1, s42, v56
	v_add_nc_u32_e32 v32, s48, v48
	v_mul_hi_u32 v103, s42, v55
	v_mul_hi_u32 v104, s42, v54
	s_delay_alu instid0(VALU_DEP_3) | instskip(SKIP_2) | instid1(VALU_DEP_2)
	v_cmp_gt_i32_e64 s4, s93, v32
	v_add_nc_u32_e32 v0, v33, v0
	v_add_nc_u32_e32 v1, v32, v1
	v_lshrrev_b32_e32 v0, s62, v0
	s_delay_alu instid0(VALU_DEP_2) | instskip(NEXT) | instid1(VALU_DEP_2)
	v_lshrrev_b32_e32 v1, s62, v1
	v_mul_hi_u32 v2, v0, s78
	s_delay_alu instid0(VALU_DEP_2) | instskip(SKIP_2) | instid1(VALU_DEP_4)
	v_mul_hi_u32 v3, v1, s78
	v_mul_lo_u32 v6, s99, v0
	v_mad_u64_u32 v[42:43], null, s99, v1, v[32:33]
	v_add_nc_u32_e32 v2, v0, v2
	s_delay_alu instid0(VALU_DEP_4) | instskip(NEXT) | instid1(VALU_DEP_4)
	v_add_nc_u32_e32 v3, v1, v3
	v_sub_nc_u32_e32 v9, v6, v66
	v_add_nc_u32_e32 v6, v33, v6
	s_delay_alu instid0(VALU_DEP_4) | instskip(NEXT) | instid1(VALU_DEP_4)
	v_lshrrev_b32_e32 v2, s61, v2
	v_lshrrev_b32_e32 v3, s61, v3
	s_delay_alu instid0(VALU_DEP_3) | instskip(NEXT) | instid1(VALU_DEP_3)
	v_sub_nc_u32_e32 v6, v42, v6
	v_mul_hi_u32 v4, v2, s40
	s_delay_alu instid0(VALU_DEP_3) | instskip(SKIP_2) | instid1(VALU_DEP_4)
	v_mul_hi_u32 v5, v3, s40
	v_mul_lo_u32 v7, v2, s37
	v_mul_lo_u32 v8, v3, s37
	v_add_nc_u32_e32 v4, v2, v4
	s_delay_alu instid0(VALU_DEP_4) | instskip(NEXT) | instid1(VALU_DEP_4)
	v_add_nc_u32_e32 v5, v3, v5
	v_sub_nc_u32_e32 v0, v0, v7
	s_delay_alu instid0(VALU_DEP_4)
	v_sub_nc_u32_e32 v67, v1, v8
	v_add_nc_u32_e32 v1, v33, v9
	v_lshrrev_b32_e32 v4, s60, v4
	v_lshrrev_b32_e32 v66, s60, v5
	v_sub_nc_u32_e32 v8, v0, v61
	v_sub_nc_u32_e32 v0, v67, v0
	v_mul_lo_u32 v1, v1, s92
	v_mul_lo_u32 v5, v4, s36
	;; [unrolled: 1-line block ×4, first 2 shown]
	s_delay_alu instid0(VALU_DEP_3)
	v_sub_nc_u32_e32 v2, v2, v5
	v_sub_nc_u32_e32 v5, v4, v59
	;; [unrolled: 1-line block ×4, first 2 shown]
	v_mul_lo_u32 v59, v0, s90
	v_sub_nc_u32_e32 v3, v2, v64
	v_mul_lo_u32 v61, v5, s88
	v_mul_lo_u32 v64, v4, s88
	v_sub_nc_u32_e32 v0, v68, v2
	v_mul_lo_u32 v2, v6, s92
	v_mul_lo_u32 v101, v3, s86
	;; [unrolled: 1-line block ×8, first 2 shown]
	v_add3_u32 v1, v1, v65, v3
	v_mul_lo_u32 v3, v102, s46
	s_delay_alu instid0(VALU_DEP_4) | instskip(SKIP_1) | instid1(VALU_DEP_4)
	v_add3_u32 v2, v4, v2, v5
	v_add_nc_u32_e32 v4, v52, v36
	v_add3_u32 v8, v1, v0, v6
	v_add_nc_u32_e32 v0, v53, v36
	s_delay_alu instid0(VALU_DEP_2)
	v_add3_u32 v65, v2, v8, v3
	s_clause 0x1
	buffer_load_b128 v[0:3], v0, s[56:59], 0 offen
	buffer_load_b128 v[4:7], v4, s[56:59], 0 offen
	s_clause 0x1
	buffer_load_b128 v[8:11], v8, s[52:55], 0 offen
	buffer_load_b128 v[12:15], v65, s[52:55], 0 offen
	s_waitcnt vmcnt(0) lgkmcnt(0)
	s_waitcnt_vscnt null, 0x0
	s_barrier
	s_clause 0x3
	scratch_load_b32 v18, off, off offset:80
	scratch_load_b64 v[16:17], off, off offset:400
	scratch_load_b32 v22, off, off offset:112
	scratch_load_b64 v[20:21], off, off offset:416
	s_clause 0x3
	scratch_store_b128 off, v[38:41], off
	scratch_store_b128 off, v[38:41], off offset:16
	scratch_store_b128 off, v[38:41], off offset:32
	;; [unrolled: 1-line block ×3, first 2 shown]
	v_add_nc_u32_e32 v43, v43, v63
	v_add_nc_u32_e32 v32, v61, v62
	;; [unrolled: 1-line block ×4, first 2 shown]
	s_delay_alu instid0(VALU_DEP_4)
	v_cmp_le_i32_e64 s5, s23, v43
	v_cmp_gt_i32_e64 s6, s22, v43
	v_add_nc_u32_e32 v62, v59, v43
	v_cmp_gt_i32_e64 s8, s94, v63
	v_add_nc_u32_e32 v63, v64, v32
	v_cmp_gt_i32_e64 s7, s94, v105
	s_and_b32 s11, s5, s6
	v_cmp_le_i32_e64 s6, s23, v62
	v_cmp_gt_i32_e64 s9, s22, v62
	v_cmp_le_i32_e64 s5, s17, v32
	v_cmp_gt_i32_e64 s10, s16, v32
	s_delay_alu instid0(VALU_DEP_3) | instskip(SKIP_1) | instid1(VALU_DEP_2)
	s_and_b32 s27, s6, s9
	v_cmp_gt_i32_e64 s6, s16, v63
	s_and_b32 s5, s5, s10
	s_and_b32 s4, s4, s27
	s_waitcnt vmcnt(3)
	v_ashrrev_i32_e32 v19, 31, v18
	s_waitcnt vmcnt(2)
	v_add_co_u32 v97, vcc_lo, v16, v18
	s_waitcnt vmcnt(1)
	v_ashrrev_i32_e32 v23, 31, v22
	v_add_co_ci_u32_e32 v98, vcc_lo, v17, v19, vcc_lo
	s_waitcnt vmcnt(0)
	v_add_co_u32 v24, vcc_lo, v20, v22
	s_delay_alu instid0(VALU_DEP_3) | instskip(SKIP_4) | instid1(VALU_DEP_1)
	v_add_co_ci_u32_e32 v25, vcc_lo, v21, v23, vcc_lo
	flat_load_b128 v[16:19], v[97:98]
	v_cmp_gt_i32_e32 vcc_lo, s93, v33
	v_add_nc_u32_e32 v33, v101, v60
	s_and_b32 s15, vcc_lo, s11
	v_add_nc_u32_e32 v60, v102, v33
	v_cmp_le_i32_e64 s9, s20, v33
	v_cmp_gt_i32_e64 s11, s21, v33
	v_cmp_le_i32_e32 vcc_lo, s17, v63
	s_delay_alu instid0(VALU_DEP_4) | instskip(SKIP_1) | instid1(VALU_DEP_4)
	v_cmp_le_i32_e64 s12, s20, v60
	v_cmp_gt_i32_e64 s13, s21, v60
	s_and_b32 s9, s9, s11
	s_and_b32 s6, vcc_lo, s6
	s_and_b32 s9, s15, s9
	s_and_b32 vcc_lo, s2, s7
	s_and_b32 s10, s12, s13
	s_and_b32 s5, s5, s9
	;; [unrolled: 1-line block ×3, first 2 shown]
	v_dual_cndmask_b32 v101, 0, v3 :: v_dual_cndmask_b32 v102, 0, v2
	v_dual_cndmask_b32 v105, 0, v1 :: v_dual_cndmask_b32 v106, 0, v0
	s_and_b32 vcc_lo, s2, s8
	s_and_b32 s4, s6, s4
	v_dual_cndmask_b32 v107, 0, v7 :: v_dual_cndmask_b32 v108, 0, v6
	v_dual_cndmask_b32 v109, 0, v5 :: v_dual_cndmask_b32 v110, 0, v4
	s_and_b32 vcc_lo, s3, s5
	v_cndmask_b32_e32 v43, 0, v11, vcc_lo
	v_cndmask_b32_e32 v59, 0, v10, vcc_lo
	v_dual_cndmask_b32 v61, 0, v9 :: v_dual_cndmask_b32 v64, 0, v8
	s_and_b32 vcc_lo, s3, s4
	v_dual_cndmask_b32 v111, 0, v15 :: v_dual_cndmask_b32 v112, 0, v14
	v_dual_cndmask_b32 v113, 0, v13 :: v_dual_cndmask_b32 v114, 0, v12
	s_waitcnt vmcnt(0) lgkmcnt(0)
	scratch_store_b128 off, v[16:19], off
	flat_load_b128 v[20:23], v[24:25]
	s_waitcnt vmcnt(0) lgkmcnt(0)
	scratch_store_b128 off, v[20:23], off offset:32
	flat_load_b128 v[24:27], v[24:25] offset:256
	s_clause 0x7
	scratch_load_b128 v[28:31], off, off offset:144
	scratch_load_b128 v[69:72], off, off offset:176
	;; [unrolled: 1-line block ×8, first 2 shown]
	s_waitcnt vmcnt(8) lgkmcnt(0)
	scratch_store_b128 off, v[24:27], off offset:48
	flat_load_b128 v[97:100], v[97:98] offset:256
	s_waitcnt vmcnt(8)
	v_dot4_i32_iu8 v0, v16, v20, v28 neg_lo:[1,1,0]
	v_dot4_i32_iu8 v1, v16, v21, v29 neg_lo:[1,1,0]
	v_dot4_i32_iu8 v2, v16, v22, v30 neg_lo:[1,1,0]
	v_dot4_i32_iu8 v3, v16, v23, v31 neg_lo:[1,1,0]
	s_waitcnt vmcnt(7)
	v_dot4_i32_iu8 v4, v17, v20, v69 neg_lo:[1,1,0]
	v_dot4_i32_iu8 v5, v17, v21, v70 neg_lo:[1,1,0]
	v_dot4_i32_iu8 v6, v17, v22, v71 neg_lo:[1,1,0]
	v_dot4_i32_iu8 v7, v17, v23, v72 neg_lo:[1,1,0]
	;; [unrolled: 5-line block ×8, first 2 shown]
	s_clause 0x7
	scratch_store_b128 off, v[0:3], off offset:144
	scratch_store_b128 off, v[20:23], off offset:160
	;; [unrolled: 1-line block ×8, first 2 shown]
	s_waitcnt vmcnt(0) lgkmcnt(0)
	scratch_store_b128 off, v[97:100], off offset:16
	v_dual_mov_b32 v1, s51 :: v_dual_mov_b32 v0, s67
	v_dual_mov_b32 v2, s73 :: v_dual_mov_b32 v3, s75
	v_mov_b32_e32 v6, s81
	v_dual_mov_b32 v4, s80 :: v_dual_mov_b32 v5, s82
	v_dual_mov_b32 v8, s50 :: v_dual_mov_b32 v7, s83
	;; [unrolled: 1-line block ×3, first 2 shown]
	v_mov_b32_e32 v11, s74
	s_swappc_b64 s[30:31], s[64:65]
	s_clause 0xe
	scratch_load_b32 v81, off, off offset:16
	scratch_load_b32 v82, off, off offset:32
	scratch_load_b128 v[0:3], off, off offset:272
	scratch_load_b128 v[4:7], off, off offset:32
	;; [unrolled: 1-line block ×6, first 2 shown]
	scratch_load_b32 v8, off, off offset:48
	scratch_load_b128 v[24:27], off, off offset:288
	scratch_load_b128 v[28:31], off, off offset:48
	;; [unrolled: 1-line block ×5, first 2 shown]
	scratch_load_b64 v[32:33], off, off offset:432
	v_perm_b32 v64, v64, v64, 0x3020104
	v_perm_b32 v59, v59, v59, 0x3020104
	;; [unrolled: 1-line block ×4, first 2 shown]
	v_add_nc_u32_e32 v99, s48, v47
	v_add_nc_u32_e32 v100, s48, v46
	s_add_i32 s4, s76, s79
	s_delay_alu instid0(SALU_CYCLE_1)
	v_add3_u32 v58, s4, s4, v58
	s_waitcnt vmcnt(12)
	v_dot4_i32_iu8 v0, v81, v82, v0 neg_lo:[1,1,0]
	s_waitcnt vmcnt(11)
	v_dot4_i32_iu8 v1, v81, v5, v1 neg_lo:[1,1,0]
	v_dot4_i32_iu8 v2, v81, v6, v2 neg_lo:[1,1,0]
	v_dot4_i32_iu8 v3, v81, v7, v3 neg_lo:[1,1,0]
	s_waitcnt vmcnt(9)
	v_dot4_i32_iu8 v13, v9, v5, v13 neg_lo:[1,1,0]
	v_dot4_i32_iu8 v14, v9, v6, v14 neg_lo:[1,1,0]
	;; [unrolled: 4-line block ×4, first 2 shown]
	v_dot4_i32_iu8 v6, v11, v6, v22 neg_lo:[1,1,0]
	v_dot4_i32_iu8 v7, v11, v7, v23 neg_lo:[1,1,0]
	s_waitcnt vmcnt(5)
	v_dot4_i32_iu8 v20, v81, v8, v24 neg_lo:[1,1,0]
	s_waitcnt vmcnt(4)
	v_dot4_i32_iu8 v21, v81, v29, v25 neg_lo:[1,1,0]
	v_dot4_i32_iu8 v22, v81, v30, v26 neg_lo:[1,1,0]
	;; [unrolled: 1-line block ×4, first 2 shown]
	s_waitcnt vmcnt(3)
	v_dot4_i32_iu8 v24, v9, v8, v69 neg_lo:[1,1,0]
	v_dot4_i32_iu8 v25, v9, v29, v70 neg_lo:[1,1,0]
	;; [unrolled: 1-line block ×4, first 2 shown]
	s_waitcnt vmcnt(0)
	v_add_co_u32 v28, vcc_lo, v32, v34
	v_dot4_i32_iu8 v16, v10, v82, v16 neg_lo:[1,1,0]
	v_dot4_i32_iu8 v69, v10, v8, v73 neg_lo:[1,1,0]
	;; [unrolled: 1-line block ×9, first 2 shown]
	v_add_co_ci_u32_e32 v29, vcc_lo, 0, v33, vcc_lo
	s_clause 0x7
	scratch_store_b128 off, v[0:3], off offset:272
	scratch_store_b128 off, v[20:23], off offset:288
	;; [unrolled: 1-line block ×8, first 2 shown]
	s_clause 0x7
	flat_store_b32 v[28:29], v64
	flat_store_b32 v[28:29], v61 offset:512
	flat_store_b32 v[28:29], v59 offset:1024
	;; [unrolled: 1-line block ×7, first 2 shown]
	scratch_load_b64 v[20:21], off, off offset:448
	v_add_nc_u32_e32 v0, v99, v103
	v_add_nc_u32_e32 v12, v50, v36
	s_delay_alu instid0(VALU_DEP_2) | instskip(SKIP_1) | instid1(VALU_DEP_2)
	v_lshrrev_b32_e32 v2, s62, v0
	v_add_nc_u32_e32 v0, v100, v104
	v_mul_hi_u32 v1, v2, s78
	s_delay_alu instid0(VALU_DEP_2) | instskip(NEXT) | instid1(VALU_DEP_1)
	v_lshrrev_b32_e32 v103, s62, v0
	v_mul_hi_u32 v0, v103, s78
	v_mul_lo_u32 v43, s99, v103
	s_delay_alu instid0(VALU_DEP_4) | instskip(NEXT) | instid1(VALU_DEP_1)
	v_add_nc_u32_e32 v1, v2, v1
	v_lshrrev_b32_e32 v3, s61, v1
	s_delay_alu instid0(VALU_DEP_4) | instskip(NEXT) | instid1(VALU_DEP_4)
	v_add_nc_u32_e32 v0, v103, v0
	v_add_nc_u32_e32 v9, v100, v43
	s_delay_alu instid0(VALU_DEP_3) | instskip(NEXT) | instid1(VALU_DEP_3)
	v_mul_hi_u32 v4, v3, s40
	v_lshrrev_b32_e32 v5, s61, v0
	v_mad_u64_u32 v[0:1], null, s99, v2, v[99:100]
	v_mul_lo_u32 v6, v3, s37
	s_delay_alu instid0(VALU_DEP_3)
	v_mul_hi_u32 v1, v5, s40
	v_mul_lo_u32 v7, v5, s37
	v_add_nc_u32_e32 v4, v3, v4
	v_sub_nc_u32_e32 v8, v0, v42
	v_sub_nc_u32_e32 v0, v9, v0
	;; [unrolled: 1-line block ×3, first 2 shown]
	s_delay_alu instid0(VALU_DEP_4)
	v_lshrrev_b32_e32 v4, s60, v4
	v_add_nc_u32_e32 v1, v5, v1
	v_sub_nc_u32_e32 v61, v103, v7
	v_mul_lo_u32 v0, v0, s92
	v_sub_nc_u32_e32 v7, v2, v67
	v_mul_lo_u32 v6, v4, s36
	v_lshrrev_b32_e32 v59, s60, v1
	v_mul_lo_u32 v1, v8, s92
	v_sub_nc_u32_e32 v8, v4, v66
	v_sub_nc_u32_e32 v2, v61, v2
	v_mul_lo_u32 v42, v7, s90
	v_mul_lo_u32 v10, v59, s36
	v_sub_nc_u32_e32 v4, v59, v4
	v_sub_nc_u32_e32 v3, v3, v6
	v_mul_lo_u32 v66, v8, s88
	v_mul_lo_u32 v104, v2, s90
	v_perm_b32 v7, v106, v106, 0x3020104
	v_mul_lo_u32 v111, v4, s88
	v_sub_nc_u32_e32 v6, v3, v68
	v_sub_nc_u32_e32 v64, v5, v10
	v_mul_lo_u32 v2, v42, s47
	v_add_nc_u32_e32 v9, v51, v36
	v_mul_lo_u32 v4, v66, s45
	v_mul_lo_u32 v112, v6, s86
	v_sub_nc_u32_e32 v3, v64, v3
	v_mul_lo_u32 v5, v104, s47
	v_mul_lo_u32 v6, v111, s45
	v_perm_b32 v8, v108, v108, 0x3020104
	s_delay_alu instid0(VALU_DEP_4)
	v_mul_lo_u32 v113, v3, s86
	v_add3_u32 v1, v2, v1, v4
	v_mul_lo_u32 v3, v112, s46
	v_perm_b32 v2, v102, v102, 0x3020104
	v_perm_b32 v4, v110, v110, 0x3020104
	v_add3_u32 v5, v5, v0, v6
	v_mul_lo_u32 v6, v113, s46
	v_add3_u32 v3, v1, v3, v65
	s_delay_alu instid0(VALU_DEP_1)
	v_add3_u32 v65, v5, v6, v3
	s_waitcnt vmcnt(0)
	v_add_co_u32 v0, vcc_lo, v20, v34
	v_add_co_ci_u32_e32 v1, vcc_lo, 0, v21, vcc_lo
	s_clause 0x7
	flat_store_b32 v[0:1], v7
	flat_store_b32 v[0:1], v105 offset:512
	flat_store_b32 v[0:1], v2 offset:1024
	;; [unrolled: 1-line block ×7, first 2 shown]
	s_clause 0x1
	buffer_load_b128 v[0:3], v3, s[52:55], 0 offen
	buffer_load_b128 v[4:7], v65, s[52:55], 0 offen
	s_clause 0x1
	buffer_load_b128 v[8:11], v9, s[56:59], 0 offen
	buffer_load_b128 v[12:15], v12, s[56:59], 0 offen
	s_waitcnt vmcnt(0) lgkmcnt(0)
	s_waitcnt_vscnt null, 0x0
	s_barrier
	s_clause 0x1
	scratch_load_b32 v16, off, off offset:80
	scratch_load_b32 v22, off, off offset:112
	s_clause 0x3
	scratch_store_b128 off, v[38:41], off
	scratch_store_b128 off, v[38:41], off offset:16
	scratch_store_b128 off, v[38:41], off offset:32
	;; [unrolled: 1-line block ×3, first 2 shown]
	v_add_nc_u32_e32 v42, v42, v62
	v_mul_lo_u32 v62, v103, s38
	s_delay_alu instid0(VALU_DEP_2) | instskip(SKIP_1) | instid1(VALU_DEP_1)
	v_cmp_le_i32_e64 s6, s23, v42
	v_cmp_gt_i32_e64 s7, s22, v42
	s_and_b32 s11, s6, s7
	s_waitcnt vmcnt(1)
	v_ashrrev_i32_e32 v17, 31, v16
	v_add_co_u32 v32, vcc_lo, v32, v16
	s_waitcnt vmcnt(0)
	v_ashrrev_i32_e32 v23, 31, v22
	s_delay_alu instid0(VALU_DEP_3) | instskip(SKIP_1) | instid1(VALU_DEP_3)
	v_add_co_ci_u32_e32 v33, vcc_lo, v33, v17, vcc_lo
	v_add_co_u32 v24, vcc_lo, v20, v22
	v_add_co_ci_u32_e32 v25, vcc_lo, v21, v23, vcc_lo
	flat_load_b128 v[16:19], v[32:33]
	v_cmp_gt_i32_e32 vcc_lo, s93, v99
	s_and_b32 s15, vcc_lo, s11
	s_waitcnt vmcnt(0) lgkmcnt(0)
	scratch_store_b128 off, v[16:19], off
	flat_load_b128 v[20:23], v[24:25]
	s_waitcnt vmcnt(0) lgkmcnt(0)
	scratch_store_b128 off, v[20:23], off offset:32
	flat_load_b128 v[24:27], v[24:25] offset:256
	s_clause 0x7
	scratch_load_b128 v[28:31], off, off offset:144
	scratch_load_b128 v[67:70], off, off offset:176
	;; [unrolled: 1-line block ×8, first 2 shown]
	s_waitcnt vmcnt(8) lgkmcnt(0)
	scratch_store_b128 off, v[24:27], off offset:48
	flat_load_b128 v[95:98], v[32:33] offset:256
	v_add_nc_u32_e32 v32, s77, v51
	v_add_nc_u32_e32 v33, s77, v50
	s_delay_alu instid0(VALU_DEP_2) | instskip(SKIP_2) | instid1(VALU_DEP_4)
	v_cmp_gt_i32_e64 s5, s94, v32
	v_add_nc_u32_e32 v32, v66, v63
	v_add_nc_u32_e32 v63, v104, v42
	v_cmp_gt_i32_e64 s8, s94, v33
	v_add_nc_u32_e32 v33, v112, v60
	v_sub_nc_u32_e32 v66, v58, v62
	v_add_nc_u32_e32 v62, v111, v32
	v_cmp_le_i32_e64 s7, s23, v63
	v_cmp_gt_i32_e64 s9, s22, v63
	v_cmp_gt_i32_e64 s11, s21, v33
	v_cmp_le_i32_e64 s6, s17, v32
	v_cmp_gt_i32_e64 s10, s16, v32
	v_cmp_le_i32_e32 vcc_lo, s17, v62
	s_and_b32 s27, s7, s9
	v_cmp_le_i32_e64 s9, s20, v33
	v_cmp_gt_i32_e64 s7, s16, v62
	s_and_b32 s6, s6, s10
	v_add_nc_u32_e32 v60, v113, v33
	s_delay_alu instid0(VALU_DEP_3) | instskip(NEXT) | instid1(VALU_DEP_2)
	s_and_b32 s9, s9, s11
	s_and_b32 s7, vcc_lo, s7
	s_and_b32 s9, s15, s9
	s_delay_alu instid0(VALU_DEP_1)
	v_cmp_le_i32_e64 s12, s20, v60
	s_and_b32 s6, s6, s9
	v_cmp_gt_i32_e64 s13, s21, v60
	s_and_b32 vcc_lo, s3, s6
	v_cndmask_b32_e32 v101, 0, v0, vcc_lo
	v_cmp_gt_i32_e64 s4, s93, v100
	s_delay_alu instid0(VALU_DEP_3) | instskip(SKIP_2) | instid1(VALU_DEP_3)
	s_and_b32 s10, s12, s13
	v_dual_cndmask_b32 v42, 0, v3 :: v_dual_cndmask_b32 v99, 0, v2
	v_cndmask_b32_e32 v100, 0, v1, vcc_lo
	s_and_b32 s4, s4, s27
	s_waitcnt vmcnt(8)
	v_dot4_i32_iu8 v0, v16, v20, v28 neg_lo:[1,1,0]
	s_and_b32 s4, s4, s10
	v_dot4_i32_iu8 v1, v16, v21, v29 neg_lo:[1,1,0]
	s_and_b32 s4, s7, s4
	v_dot4_i32_iu8 v2, v16, v22, v30 neg_lo:[1,1,0]
	s_and_b32 vcc_lo, s3, s4
	v_dot4_i32_iu8 v3, v16, v23, v31 neg_lo:[1,1,0]
	v_dual_cndmask_b32 v102, 0, v7 :: v_dual_cndmask_b32 v103, 0, v6
	v_dual_cndmask_b32 v104, 0, v5 :: v_dual_cndmask_b32 v105, 0, v4
	s_and_b32 vcc_lo, s2, s5
	s_waitcnt vmcnt(7)
	v_dot4_i32_iu8 v4, v17, v20, v67 neg_lo:[1,1,0]
	v_dual_cndmask_b32 v106, 0, v11 :: v_dual_cndmask_b32 v107, 0, v10
	v_dual_cndmask_b32 v108, 0, v9 :: v_dual_cndmask_b32 v109, 0, v8
	s_and_b32 vcc_lo, s2, s8
	v_dot4_i32_iu8 v5, v17, v21, v68 neg_lo:[1,1,0]
	v_dual_cndmask_b32 v110, 0, v15 :: v_dual_cndmask_b32 v111, 0, v14
	v_dual_cndmask_b32 v112, 0, v13 :: v_dual_cndmask_b32 v113, 0, v12
	v_dot4_i32_iu8 v6, v17, v22, v69 neg_lo:[1,1,0]
	v_dot4_i32_iu8 v7, v17, v23, v70 neg_lo:[1,1,0]
	s_waitcnt vmcnt(6)
	v_dot4_i32_iu8 v8, v18, v20, v71 neg_lo:[1,1,0]
	v_dot4_i32_iu8 v9, v18, v21, v72 neg_lo:[1,1,0]
	v_dot4_i32_iu8 v10, v18, v22, v73 neg_lo:[1,1,0]
	v_dot4_i32_iu8 v11, v18, v23, v74 neg_lo:[1,1,0]
	s_waitcnt vmcnt(5)
	v_dot4_i32_iu8 v12, v19, v20, v75 neg_lo:[1,1,0]
	v_dot4_i32_iu8 v13, v19, v21, v76 neg_lo:[1,1,0]
	;; [unrolled: 5-line block ×6, first 2 shown]
	v_dot4_i32_iu8 v18, v19, v26, v93 neg_lo:[1,1,0]
	v_dot4_i32_iu8 v19, v19, v27, v94 neg_lo:[1,1,0]
	s_clause 0x7
	scratch_store_b128 off, v[0:3], off offset:144
	scratch_store_b128 off, v[20:23], off offset:160
	;; [unrolled: 1-line block ×8, first 2 shown]
	s_waitcnt vmcnt(0) lgkmcnt(0)
	scratch_store_b128 off, v[95:98], off offset:16
	v_dual_mov_b32 v5, s82 :: v_dual_mov_b32 v0, s67
	v_mov_b32_e32 v7, s83
	v_dual_mov_b32 v1, s51 :: v_dual_mov_b32 v2, s68
	v_mov_b32_e32 v9, s69
	v_dual_mov_b32 v3, s71 :: v_dual_mov_b32 v4, s80
	v_dual_mov_b32 v11, s70 :: v_dual_mov_b32 v6, s81
	v_mov_b32_e32 v8, s50
	v_mov_b32_e32 v10, s66
	s_swappc_b64 s[30:31], s[64:65]
	s_clause 0xe
	scratch_load_b32 v79, off, off offset:16
	scratch_load_b32 v80, off, off offset:32
	scratch_load_b128 v[2:5], off, off offset:272
	scratch_load_b128 v[6:9], off, off offset:32
	;; [unrolled: 1-line block ×6, first 2 shown]
	scratch_load_b32 v10, off, off offset:48
	scratch_load_b128 v[26:29], off, off offset:288
	scratch_load_b128 v[30:33], off, off offset:48
	;; [unrolled: 1-line block ×5, first 2 shown]
	scratch_load_b64 v[0:1], off, off offset:400
	v_perm_b32 v81, v101, v101, 0x3020104
	v_perm_b32 v82, v99, v99, 0x3020104
	v_perm_b32 v83, v105, v105, 0x3020104
	v_perm_b32 v84, v103, v103, 0x3020104
	v_add_nc_u32_e32 v36, s98, v36
	v_add_nc_u32_e32 v57, s91, v57
	;; [unrolled: 1-line block ×5, first 2 shown]
	s_add_i32 s87, s87, 32
	s_add_i32 s77, s77, s98
	;; [unrolled: 1-line block ×3, first 2 shown]
	s_cmp_lt_i32 s87, s89
	s_waitcnt vmcnt(12)
	v_dot4_i32_iu8 v2, v79, v80, v2 neg_lo:[1,1,0]
	s_waitcnt vmcnt(11)
	v_dot4_i32_iu8 v3, v79, v7, v3 neg_lo:[1,1,0]
	v_dot4_i32_iu8 v4, v79, v8, v4 neg_lo:[1,1,0]
	v_dot4_i32_iu8 v5, v79, v9, v5 neg_lo:[1,1,0]
	s_waitcnt vmcnt(9)
	v_dot4_i32_iu8 v15, v11, v7, v15 neg_lo:[1,1,0]
	v_dot4_i32_iu8 v16, v11, v8, v16 neg_lo:[1,1,0]
	;; [unrolled: 4-line block ×4, first 2 shown]
	v_dot4_i32_iu8 v8, v13, v8, v24 neg_lo:[1,1,0]
	v_dot4_i32_iu8 v9, v13, v9, v25 neg_lo:[1,1,0]
	s_waitcnt vmcnt(5)
	v_dot4_i32_iu8 v22, v79, v10, v26 neg_lo:[1,1,0]
	s_waitcnt vmcnt(4)
	v_dot4_i32_iu8 v23, v79, v31, v27 neg_lo:[1,1,0]
	v_dot4_i32_iu8 v24, v79, v32, v28 neg_lo:[1,1,0]
	;; [unrolled: 1-line block ×4, first 2 shown]
	s_waitcnt vmcnt(3)
	v_dot4_i32_iu8 v26, v11, v10, v67 neg_lo:[1,1,0]
	v_dot4_i32_iu8 v27, v11, v31, v68 neg_lo:[1,1,0]
	;; [unrolled: 1-line block ×4, first 2 shown]
	s_waitcnt vmcnt(0)
	v_add_co_u32 v30, vcc_lo, v0, v34
	v_dot4_i32_iu8 v18, v12, v80, v18 neg_lo:[1,1,0]
	v_dot4_i32_iu8 v67, v12, v10, v71 neg_lo:[1,1,0]
	;; [unrolled: 1-line block ×9, first 2 shown]
	v_add_co_ci_u32_e32 v31, vcc_lo, 0, v1, vcc_lo
	s_clause 0x7
	scratch_store_b128 off, v[2:5], off offset:272
	scratch_store_b128 off, v[22:25], off offset:288
	;; [unrolled: 1-line block ×8, first 2 shown]
	s_clause 0x7
	flat_store_b32 v[30:31], v81
	flat_store_b32 v[30:31], v100 offset:512
	flat_store_b32 v[30:31], v82 offset:1024
	;; [unrolled: 1-line block ×7, first 2 shown]
	scratch_load_b64 v[2:3], off, off offset:416
	v_perm_b32 v6, v109, v109, 0x3020104
	v_perm_b32 v7, v107, v107, 0x3020104
	;; [unrolled: 1-line block ×4, first 2 shown]
	s_waitcnt vmcnt(0)
	v_add_co_u32 v4, vcc_lo, v2, v34
	v_add_co_ci_u32_e32 v5, vcc_lo, 0, v3, vcc_lo
	s_clause 0x7
	flat_store_b32 v[4:5], v6
	flat_store_b32 v[4:5], v108 offset:512
	flat_store_b32 v[4:5], v7 offset:1024
	;; [unrolled: 1-line block ×7, first 2 shown]
	s_cbranch_scc1 .LBB10_1
; %bb.2:
	s_waitcnt lgkmcnt(0)
	s_waitcnt_vscnt null, 0x0
	s_barrier
	s_clause 0x1
	scratch_load_b32 v4, off, off offset:80
	scratch_load_b32 v8, off, off offset:112
	s_mov_b32 s4, 0
	v_add3_u32 v42, s79, s48, v44
	s_mov_b32 s7, s4
	s_mov_b32 s5, s4
	;; [unrolled: 1-line block ×3, first 2 shown]
	s_delay_alu instid0(SALU_CYCLE_1)
	v_dual_mov_b32 v41, s7 :: v_dual_mov_b32 v40, s6
	v_dual_mov_b32 v39, s5 :: v_dual_mov_b32 v38, s4
	s_clause 0x3
	scratch_store_b128 off, v[38:41], off
	scratch_store_b128 off, v[38:41], off offset:16
	scratch_store_b128 off, v[38:41], off offset:32
	;; [unrolled: 1-line block ×3, first 2 shown]
	v_mul_hi_u32 v12, v42, s42
	v_add_nc_u32_e32 v58, s76, v42
	v_add3_u32 v20, v44, v43, s48
	s_mul_i32 s97, s97, 12
	s_load_b64 s[8:9], s[0:1], 0x10
	v_add3_u32 v23, v45, v36, s97
	v_mul_hi_u32 v13, v58, s42
	s_mul_i32 s0, s28, s96
	v_add_nc_u32_e32 v12, v42, v12
	s_mul_hi_u32 s1, s28, s95
	s_add_u32 s12, s84, s41
	s_mul_i32 s4, s29, s95
	s_addc_u32 s13, s85, s24
	v_lshrrev_b32_e32 v14, s62, v12
	v_add_nc_u32_e32 v13, v58, v13
	s_add_i32 s0, s1, s0
	s_mul_i32 s7, s28, s95
	s_add_i32 s10, s0, s4
	v_mul_hi_u32 v12, v14, s78
	v_lshrrev_b32_e32 v17, s62, v13
	v_mul_lo_u32 v15, v14, s38
	s_mov_b64 s[28:29], src_private_base
	s_delay_alu instid0(VALU_DEP_2) | instskip(SKIP_2) | instid1(VALU_DEP_4)
	v_mul_hi_u32 v13, v17, s78
	s_waitcnt lgkmcnt(0)
	s_add_u32 s24, s8, s7
	v_add_nc_u32_e32 v12, v14, v12
	s_delay_alu instid0(VALU_DEP_1) | instskip(NEXT) | instid1(VALU_DEP_3)
	v_lshrrev_b32_e32 v18, s61, v12
	v_add_nc_u32_e32 v13, v17, v13
	s_delay_alu instid0(VALU_DEP_2) | instskip(NEXT) | instid1(VALU_DEP_2)
	v_mul_hi_u32 v12, v18, s40
	v_lshrrev_b32_e32 v19, s61, v13
	v_mul_lo_u32 v13, v18, s37
	s_delay_alu instid0(VALU_DEP_2) | instskip(NEXT) | instid1(VALU_DEP_4)
	v_mul_hi_u32 v21, v19, s40
	v_add_nc_u32_e32 v16, v18, v12
	v_sub_nc_u32_e32 v12, v42, v15
	s_delay_alu instid0(VALU_DEP_4) | instskip(NEXT) | instid1(VALU_DEP_3)
	v_sub_nc_u32_e32 v13, v14, v13
	v_lshrrev_b32_e32 v22, s60, v16
	v_add_nc_u32_e32 v21, v19, v21
	s_delay_alu instid0(VALU_DEP_3) | instskip(SKIP_1) | instid1(VALU_DEP_4)
	v_mad_u64_u32 v[14:15], null, v19, s37, v[13:14]
	v_sub_nc_u32_e32 v13, v13, v61
	v_mul_lo_u32 v24, v22, s36
	v_sub_nc_u32_e32 v20, v12, v20
	s_delay_alu instid0(VALU_DEP_3)
	v_mad_u64_u32 v[15:16], null, v17, s38, v[12:13]
	v_lshrrev_b32_e32 v16, s60, v21
	v_mul_lo_u32 v36, v13, s90
	v_sub_nc_u32_e32 v12, v18, v24
	v_sub_nc_u32_e32 v18, v22, v59
	;; [unrolled: 1-line block ×3, first 2 shown]
	v_add_nc_u32_e32 v21, s25, v23
	v_sub_nc_u32_e32 v15, v58, v15
	v_mad_u64_u32 v[13:14], null, v16, s36, v[12:13]
	v_sub_nc_u32_e32 v14, v16, v22
	v_sub_nc_u32_e32 v12, v12, v64
	v_mul_lo_u32 v43, v18, s88
	v_mul_lo_u32 v44, v17, s90
	;; [unrolled: 1-line block ×5, first 2 shown]
	v_sub_nc_u32_e32 v12, v19, v13
	v_mul_lo_u32 v13, v20, s92
	v_mul_lo_u32 v14, v36, s47
	;; [unrolled: 1-line block ×7, first 2 shown]
	v_add3_u32 v16, v14, v13, v16
	s_delay_alu instid0(VALU_DEP_4) | instskip(NEXT) | instid1(VALU_DEP_2)
	v_mul_lo_u32 v22, v84, s46
	v_add3_u32 v20, v16, v20, v65
	s_waitcnt vmcnt(1)
	v_ashrrev_i32_e32 v5, 31, v4
	v_add_co_u32 v32, vcc_lo, v0, v4
	s_waitcnt vmcnt(0)
	v_ashrrev_i32_e32 v0, 31, v8
	s_delay_alu instid0(VALU_DEP_3) | instskip(SKIP_1) | instid1(VALU_DEP_3)
	v_add_co_ci_u32_e32 v33, vcc_lo, v1, v5, vcc_lo
	v_add_co_u32 v8, vcc_lo, v2, v8
	v_add_co_ci_u32_e32 v9, vcc_lo, v3, v0, vcc_lo
	flat_load_b128 v[4:7], v[32:33]
	v_cmp_gt_i32_e32 vcc_lo, s93, v42
	s_waitcnt vmcnt(0) lgkmcnt(0)
	scratch_store_b128 off, v[4:7], off
	flat_load_b128 v[0:3], v[8:9]
	s_waitcnt vmcnt(0) lgkmcnt(0)
	scratch_store_b128 off, v[0:3], off offset:32
	flat_load_b128 v[8:11], v[8:9] offset:256
	buffer_load_b128 v[12:15], v23, s[56:59], 0 offen
	v_add3_u32 v23, v18, v17, v19
	buffer_load_b128 v[16:19], v21, s[56:59], 0 offen
	v_add3_u32 v24, v23, v22, v20
	s_clause 0x1
	buffer_load_b128 v[20:23], v20, s[52:55], 0 offen
	buffer_load_b128 v[24:27], v24, s[52:55], 0 offen
	s_clause 0x7
	scratch_load_b128 v[28:31], off, off offset:144
	scratch_load_b128 v[46:49], off, off offset:176
	;; [unrolled: 1-line block ×8, first 2 shown]
	v_add_nc_u32_e32 v36, v36, v63
	s_delay_alu instid0(VALU_DEP_1)
	v_cmp_le_i32_e64 s5, s23, v36
	v_cmp_gt_i32_e64 s6, s22, v36
	s_waitcnt vmcnt(12) lgkmcnt(0)
	scratch_store_b128 off, v[8:11], off offset:48
	flat_load_b128 v[80:83], v[32:33] offset:256
	v_add3_u32 v32, s97, s77, v45
	s_delay_alu instid0(VALU_DEP_1)
	v_add_nc_u32_e32 v33, s25, v32
	v_cmp_gt_i32_e64 s0, s94, v32
	v_add_nc_u32_e32 v32, v43, v62
	s_addc_u32 s25, s9, s10
	s_and_b32 s9, s5, s6
	v_cmp_gt_i32_e64 s4, s94, v33
	v_add_nc_u32_e32 v33, v44, v36
	v_cmp_le_i32_e64 s5, s17, v32
	v_cmp_gt_i32_e64 s6, s16, v32
	v_add_nc_u32_e32 v32, v59, v32
	v_add_nc_u32_e32 v36, v61, v60
	v_cmp_le_i32_e64 s7, s23, v33
	v_cmp_gt_i32_e64 s8, s22, v33
	s_and_b32 s15, vcc_lo, s9
	v_cmp_le_i32_e32 vcc_lo, s17, v32
	v_cmp_gt_i32_e64 s9, s16, v32
	v_add_nc_u32_e32 v33, v84, v36
	s_and_b32 s16, s7, s8
	v_cmp_le_i32_e64 s7, s20, v36
	v_cmp_gt_i32_e64 s8, s21, v36
	s_and_b32 s5, s5, s6
	s_and_b32 s6, vcc_lo, s9
	s_and_b32 vcc_lo, s2, s0
	v_cmp_le_i32_e64 s10, s20, v33
	v_cmp_gt_i32_e64 s11, s21, v33
	s_waitcnt vmcnt(12)
	v_cndmask_b32_e32 v59, 0, v13, vcc_lo
	v_cmp_gt_i32_e64 s1, s93, v58
	s_and_b32 s7, s7, s8
	v_cndmask_b32_e32 v36, 0, v15, vcc_lo
	s_and_b32 s8, s10, s11
	s_and_b32 s7, s15, s7
	;; [unrolled: 1-line block ×5, first 2 shown]
	v_cndmask_b32_e32 v58, 0, v14, vcc_lo
	v_cndmask_b32_e32 v60, 0, v12, vcc_lo
	s_and_b32 vcc_lo, s2, s4
	s_and_b32 s1, s6, s1
	s_waitcnt vmcnt(11)
	v_dual_cndmask_b32 v61, 0, v19 :: v_dual_cndmask_b32 v62, 0, v18
	v_dual_cndmask_b32 v63, 0, v17 :: v_dual_cndmask_b32 v84, 0, v16
	s_and_b32 vcc_lo, s3, s5
	s_waitcnt vmcnt(8)
	v_dot4_i32_iu8 v12, v4, v0, v28 neg_lo:[1,1,0]
	v_dual_cndmask_b32 v85, 0, v23 :: v_dual_cndmask_b32 v86, 0, v22
	v_dual_cndmask_b32 v87, 0, v21 :: v_dual_cndmask_b32 v88, 0, v20
	s_and_b32 vcc_lo, s3, s1
	v_dot4_i32_iu8 v13, v4, v1, v29 neg_lo:[1,1,0]
	v_dot4_i32_iu8 v14, v4, v2, v30 neg_lo:[1,1,0]
	;; [unrolled: 1-line block ×3, first 2 shown]
	v_dual_cndmask_b32 v89, 0, v27 :: v_dual_cndmask_b32 v90, 0, v26
	v_dual_cndmask_b32 v91, 0, v25 :: v_dual_cndmask_b32 v92, 0, v24
	s_waitcnt vmcnt(4)
	v_dot4_i32_iu8 v24, v4, v8, v64 neg_lo:[1,1,0]
	v_dot4_i32_iu8 v25, v4, v9, v65 neg_lo:[1,1,0]
	;; [unrolled: 1-line block ×8, first 2 shown]
	s_waitcnt vmcnt(3)
	v_dot4_i32_iu8 v28, v5, v8, v68 neg_lo:[1,1,0]
	v_dot4_i32_iu8 v29, v5, v9, v69 neg_lo:[1,1,0]
	;; [unrolled: 1-line block ×12, first 2 shown]
	s_waitcnt vmcnt(2)
	v_dot4_i32_iu8 v42, v6, v8, v72 neg_lo:[1,1,0]
	v_dot4_i32_iu8 v43, v6, v9, v73 neg_lo:[1,1,0]
	;; [unrolled: 1-line block ×4, first 2 shown]
	s_waitcnt vmcnt(1)
	v_dot4_i32_iu8 v4, v7, v8, v76 neg_lo:[1,1,0]
	v_dot4_i32_iu8 v5, v7, v9, v77 neg_lo:[1,1,0]
	;; [unrolled: 1-line block ×4, first 2 shown]
	v_dual_mov_b32 v8, s50 :: v_dual_mov_b32 v9, s69
	v_mov_b32_e32 v10, s72
	s_clause 0x7
	scratch_store_b128 off, v[12:15], off offset:144
	scratch_store_b128 off, v[24:27], off offset:160
	;; [unrolled: 1-line block ×8, first 2 shown]
	s_waitcnt vmcnt(0) lgkmcnt(0)
	scratch_store_b128 off, v[80:83], off offset:16
	v_dual_mov_b32 v5, s29 :: v_dual_mov_b32 v0, s67
	v_dual_mov_b32 v1, s51 :: v_dual_mov_b32 v2, s73
	v_mov_b32_e32 v7, s29
	v_dual_mov_b32 v3, s75 :: v_dual_mov_b32 v4, 0
	v_dual_mov_b32 v11, s74 :: v_dual_mov_b32 v6, 32
	s_swappc_b64 s[30:31], s[64:65]
	s_clause 0xe
	scratch_load_b32 v54, off, off offset:16
	scratch_load_b32 v55, off, off offset:32
	scratch_load_b128 v[0:3], off, off offset:272
	scratch_load_b128 v[4:7], off, off offset:32
	;; [unrolled: 1-line block ×6, first 2 shown]
	scratch_load_b32 v8, off, off offset:48
	scratch_load_b128 v[24:27], off, off offset:288
	scratch_load_b128 v[28:31], off, off offset:48
	;; [unrolled: 1-line block ×5, first 2 shown]
	scratch_load_b64 v[32:33], off, off offset:432
	v_perm_b32 v56, v88, v88, 0x3020104
	v_perm_b32 v57, v86, v86, 0x3020104
	;; [unrolled: 1-line block ×4, first 2 shown]
	s_waitcnt vmcnt(12)
	v_dot4_i32_iu8 v0, v54, v55, v0 neg_lo:[1,1,0]
	s_waitcnt vmcnt(11)
	v_dot4_i32_iu8 v1, v54, v5, v1 neg_lo:[1,1,0]
	v_dot4_i32_iu8 v2, v54, v6, v2 neg_lo:[1,1,0]
	v_dot4_i32_iu8 v3, v54, v7, v3 neg_lo:[1,1,0]
	s_waitcnt vmcnt(9)
	v_dot4_i32_iu8 v13, v9, v5, v13 neg_lo:[1,1,0]
	v_dot4_i32_iu8 v14, v9, v6, v14 neg_lo:[1,1,0]
	;; [unrolled: 4-line block ×4, first 2 shown]
	v_dot4_i32_iu8 v6, v11, v6, v22 neg_lo:[1,1,0]
	v_dot4_i32_iu8 v7, v11, v7, v23 neg_lo:[1,1,0]
	s_waitcnt vmcnt(5)
	v_dot4_i32_iu8 v20, v54, v8, v24 neg_lo:[1,1,0]
	s_waitcnt vmcnt(4)
	v_dot4_i32_iu8 v21, v54, v29, v25 neg_lo:[1,1,0]
	v_dot4_i32_iu8 v22, v54, v30, v26 neg_lo:[1,1,0]
	v_dot4_i32_iu8 v23, v54, v31, v27 neg_lo:[1,1,0]
	v_dot4_i32_iu8 v12, v9, v55, v12 neg_lo:[1,1,0]
	s_waitcnt vmcnt(3)
	v_dot4_i32_iu8 v24, v9, v8, v42 neg_lo:[1,1,0]
	v_dot4_i32_iu8 v25, v9, v29, v43 neg_lo:[1,1,0]
	;; [unrolled: 1-line block ×4, first 2 shown]
	s_waitcnt vmcnt(0)
	v_add_co_u32 v28, vcc_lo, v32, v34
	v_dot4_i32_iu8 v16, v10, v55, v16 neg_lo:[1,1,0]
	v_dot4_i32_iu8 v42, v10, v8, v46 neg_lo:[1,1,0]
	;; [unrolled: 1-line block ×9, first 2 shown]
	v_add_co_ci_u32_e32 v29, vcc_lo, 0, v33, vcc_lo
	s_clause 0x7
	scratch_store_b128 off, v[0:3], off offset:272
	scratch_store_b128 off, v[20:23], off offset:288
	;; [unrolled: 1-line block ×8, first 2 shown]
	s_clause 0x7
	flat_store_b32 v[28:29], v56
	flat_store_b32 v[28:29], v87 offset:512
	flat_store_b32 v[28:29], v57 offset:1024
	;; [unrolled: 1-line block ×7, first 2 shown]
	scratch_load_b64 v[4:5], off, off offset:448
	v_perm_b32 v2, v60, v60, 0x3020104
	v_perm_b32 v3, v58, v58, 0x3020104
	;; [unrolled: 1-line block ×4, first 2 shown]
	s_waitcnt vmcnt(0)
	v_add_co_u32 v0, vcc_lo, v4, v34
	v_add_co_ci_u32_e32 v1, vcc_lo, 0, v5, vcc_lo
	s_clause 0x7
	flat_store_b32 v[0:1], v2
	flat_store_b32 v[0:1], v59 offset:512
	flat_store_b32 v[0:1], v3 offset:1024
	;; [unrolled: 1-line block ×7, first 2 shown]
	s_waitcnt lgkmcnt(0)
	s_waitcnt_vscnt null, 0x0
	s_barrier
	s_clause 0x1
	scratch_load_b32 v0, off, off offset:80
	scratch_load_b32 v6, off, off offset:112
	s_clause 0x3
	scratch_store_b128 off, v[38:41], off
	scratch_store_b128 off, v[38:41], off offset:16
	scratch_store_b128 off, v[38:41], off offset:32
	;; [unrolled: 1-line block ×3, first 2 shown]
	s_waitcnt vmcnt(1)
	v_ashrrev_i32_e32 v1, 31, v0
	v_add_co_u32 v32, vcc_lo, v32, v0
	s_waitcnt vmcnt(0)
	v_ashrrev_i32_e32 v7, 31, v6
	s_delay_alu instid0(VALU_DEP_3) | instskip(SKIP_1) | instid1(VALU_DEP_3)
	v_add_co_ci_u32_e32 v33, vcc_lo, v33, v1, vcc_lo
	v_add_co_u32 v8, vcc_lo, v4, v6
	v_add_co_ci_u32_e32 v9, vcc_lo, v5, v7, vcc_lo
	flat_load_b128 v[0:3], v[32:33]
	s_waitcnt vmcnt(0) lgkmcnt(0)
	scratch_store_b128 off, v[0:3], off
	flat_load_b128 v[4:7], v[8:9]
	s_waitcnt vmcnt(0) lgkmcnt(0)
	scratch_store_b128 off, v[4:7], off offset:32
	flat_load_b128 v[8:11], v[8:9] offset:256
	s_clause 0x7
	scratch_load_b128 v[12:15], off, off offset:144
	scratch_load_b128 v[16:19], off, off offset:176
	;; [unrolled: 1-line block ×8, first 2 shown]
	s_waitcnt vmcnt(8) lgkmcnt(0)
	scratch_store_b128 off, v[8:11], off offset:48
	flat_load_b128 v[50:53], v[32:33] offset:256
	s_waitcnt vmcnt(8)
	v_dot4_i32_iu8 v12, v0, v4, v12 neg_lo:[1,1,0]
	v_dot4_i32_iu8 v13, v0, v5, v13 neg_lo:[1,1,0]
	v_dot4_i32_iu8 v14, v0, v6, v14 neg_lo:[1,1,0]
	v_dot4_i32_iu8 v15, v0, v7, v15 neg_lo:[1,1,0]
	s_waitcnt vmcnt(7)
	v_dot4_i32_iu8 v16, v1, v4, v16 neg_lo:[1,1,0]
	v_dot4_i32_iu8 v17, v1, v5, v17 neg_lo:[1,1,0]
	v_dot4_i32_iu8 v18, v1, v6, v18 neg_lo:[1,1,0]
	v_dot4_i32_iu8 v19, v1, v7, v19 neg_lo:[1,1,0]
	s_waitcnt vmcnt(6)
	v_dot4_i32_iu8 v20, v2, v4, v20 neg_lo:[1,1,0]
	v_dot4_i32_iu8 v21, v2, v5, v21 neg_lo:[1,1,0]
	v_dot4_i32_iu8 v22, v2, v6, v22 neg_lo:[1,1,0]
	v_dot4_i32_iu8 v23, v2, v7, v23 neg_lo:[1,1,0]
	s_waitcnt vmcnt(5)
	v_dot4_i32_iu8 v4, v3, v4, v24 neg_lo:[1,1,0]
	v_dot4_i32_iu8 v5, v3, v5, v25 neg_lo:[1,1,0]
	v_dot4_i32_iu8 v6, v3, v6, v26 neg_lo:[1,1,0]
	v_dot4_i32_iu8 v7, v3, v7, v27 neg_lo:[1,1,0]
	s_waitcnt vmcnt(4)
	v_dot4_i32_iu8 v24, v0, v8, v28 neg_lo:[1,1,0]
	v_dot4_i32_iu8 v25, v0, v9, v29 neg_lo:[1,1,0]
	v_dot4_i32_iu8 v26, v0, v10, v30 neg_lo:[1,1,0]
	v_dot4_i32_iu8 v27, v0, v11, v31 neg_lo:[1,1,0]
	s_waitcnt vmcnt(3)
	v_dot4_i32_iu8 v28, v1, v8, v38 neg_lo:[1,1,0]
	v_dot4_i32_iu8 v29, v1, v9, v39 neg_lo:[1,1,0]
	v_dot4_i32_iu8 v30, v1, v10, v40 neg_lo:[1,1,0]
	v_dot4_i32_iu8 v31, v1, v11, v41 neg_lo:[1,1,0]
	s_waitcnt vmcnt(2)
	v_dot4_i32_iu8 v38, v2, v8, v42 neg_lo:[1,1,0]
	v_dot4_i32_iu8 v39, v2, v9, v43 neg_lo:[1,1,0]
	v_dot4_i32_iu8 v40, v2, v10, v44 neg_lo:[1,1,0]
	v_dot4_i32_iu8 v41, v2, v11, v45 neg_lo:[1,1,0]
	s_waitcnt vmcnt(1)
	v_dot4_i32_iu8 v0, v3, v8, v46 neg_lo:[1,1,0]
	v_dot4_i32_iu8 v1, v3, v9, v47 neg_lo:[1,1,0]
	v_dot4_i32_iu8 v2, v3, v10, v48 neg_lo:[1,1,0]
	v_dot4_i32_iu8 v3, v3, v11, v49 neg_lo:[1,1,0]
	v_dual_mov_b32 v8, s50 :: v_dual_mov_b32 v9, s69
	v_dual_mov_b32 v10, s66 :: v_dual_mov_b32 v11, s70
	s_clause 0x7
	scratch_store_b128 off, v[12:15], off offset:144
	scratch_store_b128 off, v[24:27], off offset:160
	;; [unrolled: 1-line block ×8, first 2 shown]
	s_waitcnt vmcnt(0) lgkmcnt(0)
	scratch_store_b128 off, v[50:53], off offset:16
	v_dual_mov_b32 v0, s67 :: v_dual_mov_b32 v1, s51
	v_dual_mov_b32 v2, s68 :: v_dual_mov_b32 v3, s71
	v_dual_mov_b32 v4, 0 :: v_dual_mov_b32 v5, s29
	v_dual_mov_b32 v6, 32 :: v_dual_mov_b32 v7, s29
	s_swappc_b64 s[30:31], s[64:65]
	s_clause 0xd
	scratch_load_b32 v34, off, off offset:16
	scratch_load_b32 v36, off, off offset:32
	scratch_load_b128 v[2:5], off, off offset:272
	scratch_load_b128 v[6:9], off, off offset:32
	;; [unrolled: 1-line block ×6, first 2 shown]
	scratch_load_b32 v10, off, off offset:48
	scratch_load_b128 v[26:29], off, off offset:288
	scratch_load_b128 v[30:33], off, off offset:48
	;; [unrolled: 1-line block ×5, first 2 shown]
	v_lshl_add_u32 v1, s49, 7, v35
	v_lshl_add_u32 v0, s63, 7, v37
	s_mov_b32 s27, 0x31004000
	s_lshl_b32 s3, s35, 6
	s_lshl_b32 s16, s19, 6
	s_waitcnt vmcnt(10)
	v_mul_lo_u32 v6, v1, s34
	v_cmp_gt_i32_e64 s0, s44, v0
	v_cmp_gt_i32_e64 s1, s43, v1
	v_add_nc_u32_e32 v72, 0x42, v1
	v_add_nc_u32_e32 v73, 0x43, v1
	s_add_i32 s20, s19, s18
	s_mov_b32 s15, s27
	s_and_b32 vcc_lo, s1, s0
	v_cmp_gt_i32_e64 s7, s33, v72
	v_cmp_gt_i32_e64 s5, s33, v73
	v_cmp_ge_i32_e64 s6, s33, v73
	v_cmp_ge_i32_e64 s8, s33, v72
	s_lshl_b32 s17, s18, 6
	v_dot4_i32_iu8 v2, v34, v36, v2 neg_lo:[1,1,0]
	v_mad_u64_u32 v[50:51], null, v0, s35, v[6:7]
	v_dot4_i32_iu8 v3, v34, v7, v3 neg_lo:[1,1,0]
	v_dot4_i32_iu8 v4, v34, v8, v4 neg_lo:[1,1,0]
	v_dot4_i32_iu8 v5, v34, v9, v5 neg_lo:[1,1,0]
	s_waitcnt vmcnt(8)
	v_dot4_i32_iu8 v15, v11, v7, v15 neg_lo:[1,1,0]
	v_dot4_i32_iu8 v16, v11, v8, v16 neg_lo:[1,1,0]
	v_dot4_i32_iu8 v17, v11, v9, v17 neg_lo:[1,1,0]
	s_waitcnt vmcnt(7)
	;; [unrolled: 4-line block ×3, first 2 shown]
	v_dot4_i32_iu8 v6, v13, v36, v22 neg_lo:[1,1,0]
	v_dot4_i32_iu8 v7, v13, v7, v23 neg_lo:[1,1,0]
	;; [unrolled: 1-line block ×4, first 2 shown]
	s_waitcnt vmcnt(4)
	v_dot4_i32_iu8 v22, v34, v10, v26 neg_lo:[1,1,0]
	s_waitcnt vmcnt(3)
	v_dot4_i32_iu8 v23, v34, v31, v27 neg_lo:[1,1,0]
	v_dot4_i32_iu8 v24, v34, v32, v28 neg_lo:[1,1,0]
	;; [unrolled: 1-line block ×4, first 2 shown]
	s_waitcnt vmcnt(2)
	v_dot4_i32_iu8 v26, v11, v10, v38 neg_lo:[1,1,0]
	v_dot4_i32_iu8 v27, v11, v31, v39 neg_lo:[1,1,0]
	;; [unrolled: 1-line block ×5, first 2 shown]
	s_waitcnt vmcnt(1)
	v_dot4_i32_iu8 v34, v12, v10, v42 neg_lo:[1,1,0]
	v_dot4_i32_iu8 v35, v12, v31, v43 neg_lo:[1,1,0]
	v_dot4_i32_iu8 v36, v12, v32, v44 neg_lo:[1,1,0]
	v_dot4_i32_iu8 v37, v12, v33, v45 neg_lo:[1,1,0]
	s_waitcnt vmcnt(0)
	v_dot4_i32_iu8 v10, v13, v10, v46 neg_lo:[1,1,0]
	v_dot4_i32_iu8 v11, v13, v31, v47 neg_lo:[1,1,0]
	;; [unrolled: 1-line block ×4, first 2 shown]
	s_clause 0x7
	scratch_store_b128 off, v[2:5], off offset:272
	scratch_store_b128 off, v[22:25], off offset:288
	;; [unrolled: 1-line block ×8, first 2 shown]
	buffer_load_b32 v6, v50, s[24:27], 0 offen
	scratch_load_b128 v[2:5], off, off offset:144
	s_waitcnt vmcnt(1)
	v_cndmask_b32_e32 v10, 0, v6, vcc_lo
	scratch_load_b128 v[6:9], off, off offset:160
	v_lshrrev_b32_e32 v11, 8, v10
	s_waitcnt vmcnt(1)
	s_delay_alu instid0(VALU_DEP_1) | instskip(NEXT) | instid1(VALU_DEP_1)
	v_add_nc_u16 v3, v11, v3
	v_bfe_i32 v3, v3, 0, 8
	s_delay_alu instid0(VALU_DEP_1) | instskip(NEXT) | instid1(VALU_DEP_1)
	v_max_i16 v3, v3, 0
	v_and_b32_e32 v3, 0xffff, v3
	v_lshrrev_b32_e32 v12, 16, v10
	v_lshrrev_b32_e32 v13, 24, v10
	v_add_nc_u16 v2, v10, v2
	v_add_nc_u32_e32 v10, s3, v50
	s_delay_alu instid0(VALU_DEP_4) | instskip(NEXT) | instid1(VALU_DEP_4)
	v_add_nc_u16 v4, v12, v4
	v_add_nc_u16 v5, v13, v5
	s_delay_alu instid0(VALU_DEP_4) | instskip(SKIP_1) | instid1(VALU_DEP_4)
	v_bfe_i32 v2, v2, 0, 8
	v_add_nc_u32_e32 v12, s34, v50
	v_bfe_i32 v4, v4, 0, 8
	s_delay_alu instid0(VALU_DEP_4) | instskip(NEXT) | instid1(VALU_DEP_4)
	v_bfe_i32 v5, v5, 0, 8
	v_max_i16 v2, v2, 0
	s_delay_alu instid0(VALU_DEP_3) | instskip(NEXT) | instid1(VALU_DEP_3)
	v_max_i16 v4, v4, 0
	v_max_i16 v5, v5, 0
	s_delay_alu instid0(VALU_DEP_3) | instskip(NEXT) | instid1(VALU_DEP_3)
	v_and_b32_e32 v2, 0xffff, v2
	v_and_b32_e32 v4, 0xffff, v4
	s_delay_alu instid0(VALU_DEP_3) | instskip(SKIP_3) | instid1(VALU_DEP_1)
	v_and_b32_e32 v5, 0xffff, v5
	scratch_store_b128 off, v[2:5], off offset:144
	buffer_load_b32 v3, v10, s[24:27], 0 offen
	v_add_nc_u32_e32 v2, 64, v0
	v_cmp_gt_i32_e32 vcc_lo, s44, v2
	s_and_b32 s1, s1, vcc_lo
	s_waitcnt vmcnt(0)
	v_cndmask_b32_e64 v3, 0, v3, s1
	s_delay_alu instid0(VALU_DEP_1) | instskip(SKIP_3) | instid1(VALU_DEP_4)
	v_lshrrev_b32_e32 v4, 8, v3
	v_lshrrev_b32_e32 v5, 16, v3
	;; [unrolled: 1-line block ×3, first 2 shown]
	v_add_nc_u16 v3, v3, v6
	v_add_nc_u16 v4, v4, v7
	s_delay_alu instid0(VALU_DEP_4) | instskip(NEXT) | instid1(VALU_DEP_4)
	v_add_nc_u16 v5, v5, v8
	v_add_nc_u16 v6, v10, v9
	s_delay_alu instid0(VALU_DEP_4) | instskip(NEXT) | instid1(VALU_DEP_4)
	v_bfe_i32 v3, v3, 0, 8
	v_bfe_i32 v4, v4, 0, 8
	s_delay_alu instid0(VALU_DEP_4) | instskip(NEXT) | instid1(VALU_DEP_4)
	v_bfe_i32 v5, v5, 0, 8
	v_bfe_i32 v6, v6, 0, 8
	s_delay_alu instid0(VALU_DEP_4) | instskip(NEXT) | instid1(VALU_DEP_4)
	v_max_i16 v3, v3, 0
	v_max_i16 v4, v4, 0
	s_delay_alu instid0(VALU_DEP_4) | instskip(NEXT) | instid1(VALU_DEP_4)
	v_max_i16 v5, v5, 0
	v_max_i16 v6, v6, 0
	s_delay_alu instid0(VALU_DEP_4) | instskip(NEXT) | instid1(VALU_DEP_4)
	v_and_b32_e32 v3, 0xffff, v3
	v_and_b32_e32 v4, 0xffff, v4
	s_delay_alu instid0(VALU_DEP_4) | instskip(NEXT) | instid1(VALU_DEP_4)
	v_and_b32_e32 v5, 0xffff, v5
	v_and_b32_e32 v6, 0xffff, v6
	scratch_store_b128 off, v[3:6], off offset:160
	buffer_load_b32 v8, v12, s[24:27], 0 offen
	scratch_load_b128 v[4:7], off, off offset:176
	v_or_b32_e32 v3, 1, v1
	s_delay_alu instid0(VALU_DEP_1) | instskip(NEXT) | instid1(VALU_DEP_1)
	v_cmp_gt_i32_e64 s1, s43, v3
	s_and_b32 s2, s1, s0
	s_and_b32 s1, s1, vcc_lo
	s_waitcnt vmcnt(1)
	v_cndmask_b32_e64 v13, 0, v8, s2
	scratch_load_b128 v[8:11], off, off offset:192
	v_lshrrev_b32_e32 v14, 8, v13
	v_lshrrev_b32_e32 v15, 16, v13
	;; [unrolled: 1-line block ×3, first 2 shown]
	s_waitcnt vmcnt(1)
	v_add_nc_u16 v4, v13, v4
	v_add_nc_u32_e32 v13, s3, v12
	v_add_nc_u16 v5, v14, v5
	v_add_nc_u16 v6, v15, v6
	;; [unrolled: 1-line block ×3, first 2 shown]
	v_bfe_i32 v4, v4, 0, 8
	s_delay_alu instid0(VALU_DEP_4) | instskip(NEXT) | instid1(VALU_DEP_4)
	v_bfe_i32 v5, v5, 0, 8
	v_bfe_i32 v6, v6, 0, 8
	s_delay_alu instid0(VALU_DEP_4) | instskip(NEXT) | instid1(VALU_DEP_4)
	v_bfe_i32 v7, v7, 0, 8
	v_max_i16 v4, v4, 0
	s_delay_alu instid0(VALU_DEP_4) | instskip(NEXT) | instid1(VALU_DEP_4)
	v_max_i16 v5, v5, 0
	v_max_i16 v6, v6, 0
	s_delay_alu instid0(VALU_DEP_4) | instskip(NEXT) | instid1(VALU_DEP_4)
	v_max_i16 v7, v7, 0
	v_and_b32_e32 v4, 0xffff, v4
	s_delay_alu instid0(VALU_DEP_4) | instskip(NEXT) | instid1(VALU_DEP_4)
	v_and_b32_e32 v5, 0xffff, v5
	v_and_b32_e32 v6, 0xffff, v6
	s_delay_alu instid0(VALU_DEP_4)
	v_and_b32_e32 v7, 0xffff, v7
	scratch_store_b128 off, v[4:7], off offset:176
	buffer_load_b32 v4, v13, s[24:27], 0 offen
	v_add_nc_u32_e32 v13, s34, v12
	s_waitcnt vmcnt(0)
	v_cndmask_b32_e64 v4, 0, v4, s1
	s_delay_alu instid0(VALU_DEP_1) | instskip(SKIP_3) | instid1(VALU_DEP_4)
	v_lshrrev_b32_e32 v5, 8, v4
	v_lshrrev_b32_e32 v6, 16, v4
	v_lshrrev_b32_e32 v7, 24, v4
	v_add_nc_u16 v4, v4, v8
	v_add_nc_u16 v5, v5, v9
	s_delay_alu instid0(VALU_DEP_4) | instskip(NEXT) | instid1(VALU_DEP_4)
	v_add_nc_u16 v6, v6, v10
	v_add_nc_u16 v7, v7, v11
	s_delay_alu instid0(VALU_DEP_4) | instskip(NEXT) | instid1(VALU_DEP_4)
	v_bfe_i32 v4, v4, 0, 8
	v_bfe_i32 v5, v5, 0, 8
	s_delay_alu instid0(VALU_DEP_4) | instskip(NEXT) | instid1(VALU_DEP_4)
	v_bfe_i32 v6, v6, 0, 8
	v_bfe_i32 v7, v7, 0, 8
	s_delay_alu instid0(VALU_DEP_4) | instskip(NEXT) | instid1(VALU_DEP_4)
	v_max_i16 v4, v4, 0
	v_max_i16 v5, v5, 0
	s_delay_alu instid0(VALU_DEP_4) | instskip(NEXT) | instid1(VALU_DEP_4)
	v_max_i16 v6, v6, 0
	v_max_i16 v7, v7, 0
	s_delay_alu instid0(VALU_DEP_4) | instskip(NEXT) | instid1(VALU_DEP_4)
	v_and_b32_e32 v4, 0xffff, v4
	v_and_b32_e32 v5, 0xffff, v5
	s_delay_alu instid0(VALU_DEP_4) | instskip(NEXT) | instid1(VALU_DEP_4)
	v_and_b32_e32 v6, 0xffff, v6
	v_and_b32_e32 v7, 0xffff, v7
	scratch_store_b128 off, v[4:7], off offset:192
	buffer_load_b32 v9, v13, s[24:27], 0 offen
	scratch_load_b128 v[5:8], off, off offset:208
	v_or_b32_e32 v4, 2, v1
	s_delay_alu instid0(VALU_DEP_1) | instskip(NEXT) | instid1(VALU_DEP_1)
	v_cmp_gt_i32_e64 s1, s43, v4
	s_and_b32 s2, s1, s0
	s_and_b32 s1, s1, vcc_lo
	s_waitcnt vmcnt(1)
	v_cndmask_b32_e64 v14, 0, v9, s2
	scratch_load_b128 v[9:12], off, off offset:224
	v_lshrrev_b32_e32 v15, 8, v14
	v_lshrrev_b32_e32 v16, 16, v14
	;; [unrolled: 1-line block ×3, first 2 shown]
	s_waitcnt vmcnt(1)
	v_add_nc_u16 v5, v14, v5
	v_add_nc_u32_e32 v14, s3, v13
	v_add_nc_u16 v6, v15, v6
	v_add_nc_u16 v7, v16, v7
	;; [unrolled: 1-line block ×3, first 2 shown]
	v_bfe_i32 v5, v5, 0, 8
	s_delay_alu instid0(VALU_DEP_4) | instskip(NEXT) | instid1(VALU_DEP_4)
	v_bfe_i32 v6, v6, 0, 8
	v_bfe_i32 v7, v7, 0, 8
	s_delay_alu instid0(VALU_DEP_4) | instskip(NEXT) | instid1(VALU_DEP_4)
	v_bfe_i32 v8, v8, 0, 8
	v_max_i16 v5, v5, 0
	s_delay_alu instid0(VALU_DEP_4) | instskip(NEXT) | instid1(VALU_DEP_4)
	v_max_i16 v6, v6, 0
	v_max_i16 v7, v7, 0
	s_delay_alu instid0(VALU_DEP_4) | instskip(NEXT) | instid1(VALU_DEP_4)
	v_max_i16 v8, v8, 0
	v_and_b32_e32 v5, 0xffff, v5
	s_delay_alu instid0(VALU_DEP_4) | instskip(NEXT) | instid1(VALU_DEP_4)
	v_and_b32_e32 v6, 0xffff, v6
	v_and_b32_e32 v7, 0xffff, v7
	s_delay_alu instid0(VALU_DEP_4)
	v_and_b32_e32 v8, 0xffff, v8
	scratch_store_b128 off, v[5:8], off offset:208
	buffer_load_b32 v5, v14, s[24:27], 0 offen
	v_add_nc_u32_e32 v14, s34, v13
	s_waitcnt vmcnt(0)
	v_cndmask_b32_e64 v5, 0, v5, s1
	s_delay_alu instid0(VALU_DEP_1) | instskip(SKIP_3) | instid1(VALU_DEP_4)
	v_lshrrev_b32_e32 v6, 8, v5
	v_lshrrev_b32_e32 v7, 16, v5
	;; [unrolled: 1-line block ×3, first 2 shown]
	v_add_nc_u16 v5, v5, v9
	v_add_nc_u16 v6, v6, v10
	s_delay_alu instid0(VALU_DEP_4) | instskip(NEXT) | instid1(VALU_DEP_4)
	v_add_nc_u16 v7, v7, v11
	v_add_nc_u16 v8, v8, v12
	s_delay_alu instid0(VALU_DEP_4) | instskip(NEXT) | instid1(VALU_DEP_4)
	v_bfe_i32 v5, v5, 0, 8
	v_bfe_i32 v6, v6, 0, 8
	s_delay_alu instid0(VALU_DEP_4) | instskip(NEXT) | instid1(VALU_DEP_4)
	v_bfe_i32 v7, v7, 0, 8
	v_bfe_i32 v8, v8, 0, 8
	s_delay_alu instid0(VALU_DEP_4) | instskip(NEXT) | instid1(VALU_DEP_4)
	v_max_i16 v5, v5, 0
	v_max_i16 v6, v6, 0
	s_delay_alu instid0(VALU_DEP_4) | instskip(NEXT) | instid1(VALU_DEP_4)
	v_max_i16 v7, v7, 0
	v_max_i16 v8, v8, 0
	s_delay_alu instid0(VALU_DEP_4) | instskip(NEXT) | instid1(VALU_DEP_4)
	v_and_b32_e32 v5, 0xffff, v5
	v_and_b32_e32 v6, 0xffff, v6
	s_delay_alu instid0(VALU_DEP_4) | instskip(NEXT) | instid1(VALU_DEP_4)
	v_and_b32_e32 v7, 0xffff, v7
	v_and_b32_e32 v8, 0xffff, v8
	scratch_store_b128 off, v[5:8], off offset:224
	buffer_load_b32 v10, v14, s[24:27], 0 offen
	scratch_load_b128 v[6:9], off, off offset:240
	v_or_b32_e32 v5, 3, v1
	s_delay_alu instid0(VALU_DEP_1) | instskip(SKIP_1) | instid1(VALU_DEP_2)
	v_cmp_gt_i32_e64 s1, s43, v5
	v_cmp_gt_i32_e64 s4, s33, v5
	s_and_b32 s2, s1, s0
	s_and_b32 s1, s1, vcc_lo
	s_waitcnt vmcnt(1)
	v_cndmask_b32_e64 v15, 0, v10, s2
	scratch_load_b128 v[10:13], off, off offset:256
	v_lshrrev_b32_e32 v16, 8, v15
	v_lshrrev_b32_e32 v17, 16, v15
	;; [unrolled: 1-line block ×3, first 2 shown]
	s_waitcnt vmcnt(1)
	v_add_nc_u16 v6, v15, v6
	v_add_nc_u32_e32 v15, s3, v14
	v_add_nc_u16 v7, v16, v7
	v_add_nc_u16 v8, v17, v8
	;; [unrolled: 1-line block ×3, first 2 shown]
	v_bfe_i32 v6, v6, 0, 8
	s_delay_alu instid0(VALU_DEP_4) | instskip(NEXT) | instid1(VALU_DEP_4)
	v_bfe_i32 v7, v7, 0, 8
	v_bfe_i32 v8, v8, 0, 8
	s_delay_alu instid0(VALU_DEP_4) | instskip(NEXT) | instid1(VALU_DEP_4)
	v_bfe_i32 v9, v9, 0, 8
	v_max_i16 v6, v6, 0
	s_delay_alu instid0(VALU_DEP_4) | instskip(NEXT) | instid1(VALU_DEP_4)
	v_max_i16 v7, v7, 0
	v_max_i16 v8, v8, 0
	s_delay_alu instid0(VALU_DEP_4) | instskip(NEXT) | instid1(VALU_DEP_4)
	v_max_i16 v9, v9, 0
	v_and_b32_e32 v6, 0xffff, v6
	s_delay_alu instid0(VALU_DEP_4) | instskip(NEXT) | instid1(VALU_DEP_4)
	v_and_b32_e32 v7, 0xffff, v7
	v_and_b32_e32 v8, 0xffff, v8
	s_delay_alu instid0(VALU_DEP_4)
	v_and_b32_e32 v9, 0xffff, v9
	scratch_store_b128 off, v[6:9], off offset:240
	buffer_load_b32 v6, v15, s[24:27], 0 offen
	v_mad_u64_u32 v[15:16], null, s34, 61, v[14:15]
	s_waitcnt vmcnt(0)
	v_cndmask_b32_e64 v6, 0, v6, s1
	s_delay_alu instid0(VALU_DEP_1) | instskip(SKIP_3) | instid1(VALU_DEP_4)
	v_lshrrev_b32_e32 v7, 8, v6
	v_lshrrev_b32_e32 v8, 16, v6
	;; [unrolled: 1-line block ×3, first 2 shown]
	v_add_nc_u16 v6, v6, v10
	v_add_nc_u16 v7, v7, v11
	s_delay_alu instid0(VALU_DEP_4) | instskip(NEXT) | instid1(VALU_DEP_4)
	v_add_nc_u16 v8, v8, v12
	v_add_nc_u16 v9, v9, v13
	s_delay_alu instid0(VALU_DEP_4) | instskip(NEXT) | instid1(VALU_DEP_4)
	v_bfe_i32 v6, v6, 0, 8
	v_bfe_i32 v7, v7, 0, 8
	s_delay_alu instid0(VALU_DEP_4) | instskip(NEXT) | instid1(VALU_DEP_4)
	v_bfe_i32 v8, v8, 0, 8
	v_bfe_i32 v9, v9, 0, 8
	s_delay_alu instid0(VALU_DEP_4) | instskip(NEXT) | instid1(VALU_DEP_4)
	v_max_i16 v6, v6, 0
	v_max_i16 v7, v7, 0
	s_delay_alu instid0(VALU_DEP_4) | instskip(NEXT) | instid1(VALU_DEP_4)
	v_max_i16 v8, v8, 0
	v_max_i16 v9, v9, 0
	s_delay_alu instid0(VALU_DEP_4) | instskip(NEXT) | instid1(VALU_DEP_4)
	v_and_b32_e32 v6, 0xffff, v6
	v_and_b32_e32 v7, 0xffff, v7
	s_delay_alu instid0(VALU_DEP_4) | instskip(NEXT) | instid1(VALU_DEP_4)
	v_and_b32_e32 v8, 0xffff, v8
	v_and_b32_e32 v9, 0xffff, v9
	scratch_store_b128 off, v[6:9], off offset:256
	buffer_load_b32 v11, v15, s[24:27], 0 offen
	scratch_load_b128 v[7:10], off, off offset:272
	v_add_nc_u32_e32 v6, 64, v1
	s_delay_alu instid0(VALU_DEP_1) | instskip(SKIP_1) | instid1(VALU_DEP_2)
	v_cmp_gt_i32_e64 s1, s43, v6
	v_cmp_gt_i32_e64 s11, s33, v6
	s_and_b32 s2, s1, s0
	s_and_b32 s1, s1, vcc_lo
	s_waitcnt vmcnt(1)
	v_cndmask_b32_e64 v16, 0, v11, s2
	scratch_load_b128 v[11:14], off, off offset:288
	v_lshrrev_b32_e32 v17, 8, v16
	v_lshrrev_b32_e32 v18, 16, v16
	;; [unrolled: 1-line block ×3, first 2 shown]
	s_waitcnt vmcnt(1)
	v_add_nc_u16 v7, v16, v7
	v_add_nc_u32_e32 v16, s3, v15
	v_add_nc_u16 v8, v17, v8
	v_add_nc_u16 v9, v18, v9
	;; [unrolled: 1-line block ×3, first 2 shown]
	v_bfe_i32 v7, v7, 0, 8
	s_delay_alu instid0(VALU_DEP_4) | instskip(NEXT) | instid1(VALU_DEP_4)
	v_bfe_i32 v8, v8, 0, 8
	v_bfe_i32 v9, v9, 0, 8
	s_delay_alu instid0(VALU_DEP_4) | instskip(NEXT) | instid1(VALU_DEP_4)
	v_bfe_i32 v10, v10, 0, 8
	v_max_i16 v7, v7, 0
	s_delay_alu instid0(VALU_DEP_4) | instskip(NEXT) | instid1(VALU_DEP_4)
	v_max_i16 v8, v8, 0
	v_max_i16 v9, v9, 0
	s_delay_alu instid0(VALU_DEP_4) | instskip(NEXT) | instid1(VALU_DEP_4)
	v_max_i16 v10, v10, 0
	v_and_b32_e32 v7, 0xffff, v7
	s_delay_alu instid0(VALU_DEP_4) | instskip(NEXT) | instid1(VALU_DEP_4)
	v_and_b32_e32 v8, 0xffff, v8
	v_and_b32_e32 v9, 0xffff, v9
	s_delay_alu instid0(VALU_DEP_4)
	v_and_b32_e32 v10, 0xffff, v10
	scratch_store_b128 off, v[7:10], off offset:272
	buffer_load_b32 v7, v16, s[24:27], 0 offen
	v_add_nc_u32_e32 v16, s34, v15
	s_waitcnt vmcnt(0)
	v_cndmask_b32_e64 v7, 0, v7, s1
	s_delay_alu instid0(VALU_DEP_1) | instskip(SKIP_3) | instid1(VALU_DEP_4)
	v_lshrrev_b32_e32 v8, 8, v7
	v_lshrrev_b32_e32 v9, 16, v7
	;; [unrolled: 1-line block ×3, first 2 shown]
	v_add_nc_u16 v7, v7, v11
	v_add_nc_u16 v8, v8, v12
	s_delay_alu instid0(VALU_DEP_4) | instskip(NEXT) | instid1(VALU_DEP_4)
	v_add_nc_u16 v9, v9, v13
	v_add_nc_u16 v10, v10, v14
	s_delay_alu instid0(VALU_DEP_4) | instskip(NEXT) | instid1(VALU_DEP_4)
	v_bfe_i32 v7, v7, 0, 8
	v_bfe_i32 v8, v8, 0, 8
	s_delay_alu instid0(VALU_DEP_4) | instskip(NEXT) | instid1(VALU_DEP_4)
	v_bfe_i32 v9, v9, 0, 8
	v_bfe_i32 v10, v10, 0, 8
	s_delay_alu instid0(VALU_DEP_4) | instskip(NEXT) | instid1(VALU_DEP_4)
	v_max_i16 v7, v7, 0
	v_max_i16 v8, v8, 0
	s_delay_alu instid0(VALU_DEP_4) | instskip(NEXT) | instid1(VALU_DEP_4)
	v_max_i16 v9, v9, 0
	v_max_i16 v10, v10, 0
	s_delay_alu instid0(VALU_DEP_4) | instskip(NEXT) | instid1(VALU_DEP_4)
	v_and_b32_e32 v7, 0xffff, v7
	v_and_b32_e32 v8, 0xffff, v8
	s_delay_alu instid0(VALU_DEP_4) | instskip(NEXT) | instid1(VALU_DEP_4)
	v_and_b32_e32 v9, 0xffff, v9
	v_and_b32_e32 v10, 0xffff, v10
	scratch_store_b128 off, v[7:10], off offset:288
	buffer_load_b32 v12, v16, s[24:27], 0 offen
	scratch_load_b128 v[8:11], off, off offset:304
	v_add_nc_u32_e32 v7, 0x41, v1
	s_delay_alu instid0(VALU_DEP_1) | instskip(SKIP_2) | instid1(VALU_DEP_3)
	v_cmp_gt_i32_e64 s1, s43, v7
	v_cmp_gt_i32_e64 s9, s33, v7
	v_cmp_ge_i32_e64 s10, s33, v7
	s_and_b32 s2, s1, s0
	s_and_b32 s1, s1, vcc_lo
	s_waitcnt vmcnt(1)
	v_cndmask_b32_e64 v17, 0, v12, s2
	scratch_load_b128 v[12:15], off, off offset:320
	v_lshrrev_b32_e32 v18, 8, v17
	v_lshrrev_b32_e32 v19, 16, v17
	;; [unrolled: 1-line block ×3, first 2 shown]
	s_waitcnt vmcnt(1)
	v_add_nc_u16 v8, v17, v8
	v_add_nc_u32_e32 v17, s3, v16
	v_add_nc_u16 v9, v18, v9
	v_add_nc_u16 v10, v19, v10
	;; [unrolled: 1-line block ×3, first 2 shown]
	v_bfe_i32 v8, v8, 0, 8
	v_add_nc_u32_e32 v16, s34, v16
	v_bfe_i32 v9, v9, 0, 8
	v_bfe_i32 v10, v10, 0, 8
	;; [unrolled: 1-line block ×3, first 2 shown]
	v_max_i16 v8, v8, 0
	s_delay_alu instid0(VALU_DEP_4) | instskip(NEXT) | instid1(VALU_DEP_4)
	v_max_i16 v9, v9, 0
	v_max_i16 v10, v10, 0
	s_delay_alu instid0(VALU_DEP_4) | instskip(NEXT) | instid1(VALU_DEP_4)
	v_max_i16 v11, v11, 0
	v_and_b32_e32 v8, 0xffff, v8
	s_delay_alu instid0(VALU_DEP_4) | instskip(NEXT) | instid1(VALU_DEP_4)
	v_and_b32_e32 v9, 0xffff, v9
	v_and_b32_e32 v10, 0xffff, v10
	s_delay_alu instid0(VALU_DEP_4)
	v_and_b32_e32 v11, 0xffff, v11
	scratch_store_b128 off, v[8:11], off offset:304
	buffer_load_b32 v8, v17, s[24:27], 0 offen
	s_waitcnt vmcnt(0)
	v_cndmask_b32_e64 v8, 0, v8, s1
	v_cmp_gt_i32_e64 s1, s43, v72
	s_delay_alu instid0(VALU_DEP_2)
	v_lshrrev_b32_e32 v9, 8, v8
	v_lshrrev_b32_e32 v10, 16, v8
	;; [unrolled: 1-line block ×3, first 2 shown]
	v_add_nc_u16 v8, v8, v12
	s_and_b32 s2, s1, s0
	v_add_nc_u16 v9, v9, v13
	v_add_nc_u16 v10, v10, v14
	;; [unrolled: 1-line block ×3, first 2 shown]
	v_bfe_i32 v8, v8, 0, 8
	s_and_b32 s1, s1, vcc_lo
	v_bfe_i32 v9, v9, 0, 8
	v_bfe_i32 v10, v10, 0, 8
	;; [unrolled: 1-line block ×3, first 2 shown]
	v_max_i16 v8, v8, 0
	s_delay_alu instid0(VALU_DEP_4) | instskip(NEXT) | instid1(VALU_DEP_4)
	v_max_i16 v9, v9, 0
	v_max_i16 v10, v10, 0
	s_delay_alu instid0(VALU_DEP_4) | instskip(NEXT) | instid1(VALU_DEP_4)
	v_max_i16 v11, v11, 0
	v_and_b32_e32 v8, 0xffff, v8
	s_delay_alu instid0(VALU_DEP_4) | instskip(NEXT) | instid1(VALU_DEP_4)
	v_and_b32_e32 v9, 0xffff, v9
	v_and_b32_e32 v10, 0xffff, v10
	s_delay_alu instid0(VALU_DEP_4)
	v_and_b32_e32 v11, 0xffff, v11
	scratch_store_b128 off, v[8:11], off offset:320
	buffer_load_b32 v12, v16, s[24:27], 0 offen
	scratch_load_b128 v[8:11], off, off offset:336
	s_waitcnt vmcnt(1)
	v_cndmask_b32_e64 v17, 0, v12, s2
	scratch_load_b128 v[12:15], off, off offset:352
	v_cmp_gt_i32_e64 s2, s33, v3
	v_lshrrev_b32_e32 v18, 8, v17
	v_lshrrev_b32_e32 v19, 16, v17
	;; [unrolled: 1-line block ×3, first 2 shown]
	s_waitcnt vmcnt(1)
	v_add_nc_u16 v8, v17, v8
	v_add_nc_u32_e32 v17, s3, v16
	v_add_nc_u16 v9, v18, v9
	v_add_nc_u16 v10, v19, v10
	;; [unrolled: 1-line block ×3, first 2 shown]
	v_bfe_i32 v8, v8, 0, 8
	v_add_nc_u32_e32 v16, s34, v16
	v_bfe_i32 v9, v9, 0, 8
	v_bfe_i32 v10, v10, 0, 8
	;; [unrolled: 1-line block ×3, first 2 shown]
	v_max_i16 v8, v8, 0
	s_delay_alu instid0(VALU_DEP_4) | instskip(NEXT) | instid1(VALU_DEP_4)
	v_max_i16 v9, v9, 0
	v_max_i16 v10, v10, 0
	s_delay_alu instid0(VALU_DEP_4) | instskip(NEXT) | instid1(VALU_DEP_4)
	v_max_i16 v11, v11, 0
	v_and_b32_e32 v8, 0xffff, v8
	s_delay_alu instid0(VALU_DEP_4) | instskip(NEXT) | instid1(VALU_DEP_4)
	v_and_b32_e32 v9, 0xffff, v9
	v_and_b32_e32 v10, 0xffff, v10
	s_delay_alu instid0(VALU_DEP_4)
	v_and_b32_e32 v11, 0xffff, v11
	scratch_store_b128 off, v[8:11], off offset:336
	buffer_load_b32 v8, v17, s[24:27], 0 offen
	s_waitcnt vmcnt(0)
	v_cndmask_b32_e64 v8, 0, v8, s1
	v_cmp_gt_i32_e64 s1, s43, v73
	s_delay_alu instid0(VALU_DEP_2)
	v_lshrrev_b32_e32 v9, 8, v8
	v_lshrrev_b32_e32 v10, 16, v8
	;; [unrolled: 1-line block ×3, first 2 shown]
	v_add_nc_u16 v8, v8, v12
	s_and_b32 s0, s1, s0
	v_add_nc_u16 v9, v9, v13
	v_add_nc_u16 v10, v10, v14
	;; [unrolled: 1-line block ×3, first 2 shown]
	v_bfe_i32 v8, v8, 0, 8
	s_and_b32 vcc_lo, s1, vcc_lo
	v_bfe_i32 v9, v9, 0, 8
	v_bfe_i32 v10, v10, 0, 8
	v_bfe_i32 v11, v11, 0, 8
	v_max_i16 v8, v8, 0
	s_delay_alu instid0(VALU_DEP_4) | instskip(NEXT) | instid1(VALU_DEP_4)
	v_max_i16 v9, v9, 0
	v_max_i16 v10, v10, 0
	s_delay_alu instid0(VALU_DEP_4) | instskip(NEXT) | instid1(VALU_DEP_4)
	v_max_i16 v11, v11, 0
	v_and_b32_e32 v8, 0xffff, v8
	s_delay_alu instid0(VALU_DEP_4) | instskip(NEXT) | instid1(VALU_DEP_4)
	v_and_b32_e32 v9, 0xffff, v9
	v_and_b32_e32 v10, 0xffff, v10
	s_delay_alu instid0(VALU_DEP_4)
	v_and_b32_e32 v11, 0xffff, v11
	scratch_store_b128 off, v[8:11], off offset:352
	buffer_load_b32 v12, v16, s[24:27], 0 offen
	scratch_load_b128 v[8:11], off, off offset:368
	v_add_nc_u32_e32 v16, s3, v16
	v_cmp_gt_i32_e64 s3, s33, v4
	s_waitcnt vmcnt(1)
	v_cndmask_b32_e64 v17, 0, v12, s0
	scratch_load_b128 v[12:15], off, off offset:384
	v_cmp_gt_i32_e64 s0, s33, v1
	v_mul_lo_u32 v1, v1, s18
	v_lshrrev_b32_e32 v18, 8, v17
	v_lshrrev_b32_e32 v19, 16, v17
	;; [unrolled: 1-line block ×3, first 2 shown]
	s_waitcnt vmcnt(1)
	v_add_nc_u16 v8, v17, v8
	v_add_nc_u16 v9, v18, v9
	;; [unrolled: 1-line block ×4, first 2 shown]
	s_delay_alu instid0(VALU_DEP_4) | instskip(NEXT) | instid1(VALU_DEP_4)
	v_bfe_i32 v8, v8, 0, 8
	v_bfe_i32 v9, v9, 0, 8
	s_delay_alu instid0(VALU_DEP_4) | instskip(NEXT) | instid1(VALU_DEP_4)
	v_bfe_i32 v10, v10, 0, 8
	v_bfe_i32 v11, v11, 0, 8
	s_delay_alu instid0(VALU_DEP_4) | instskip(NEXT) | instid1(VALU_DEP_4)
	v_max_i16 v8, v8, 0
	v_max_i16 v9, v9, 0
	s_delay_alu instid0(VALU_DEP_4) | instskip(NEXT) | instid1(VALU_DEP_4)
	v_max_i16 v10, v10, 0
	v_max_i16 v11, v11, 0
	s_delay_alu instid0(VALU_DEP_4) | instskip(NEXT) | instid1(VALU_DEP_4)
	v_and_b32_e32 v8, 0xffff, v8
	v_and_b32_e32 v9, 0xffff, v9
	s_delay_alu instid0(VALU_DEP_4) | instskip(NEXT) | instid1(VALU_DEP_4)
	v_and_b32_e32 v10, 0xffff, v10
	v_and_b32_e32 v11, 0xffff, v11
	scratch_store_b128 off, v[8:11], off offset:368
	buffer_load_b32 v52, v16, s[24:27], 0 offen
	s_clause 0x9
	scratch_load_b128 v[8:11], off, off offset:144
	scratch_load_b128 v[16:19], off, off offset:160
	;; [unrolled: 1-line block ×10, first 2 shown]
	s_waitcnt vmcnt(9)
	v_lshlrev_b32_e32 v9, 8, v9
	v_lshlrev_b32_e32 v10, 16, v10
	s_waitcnt vmcnt(8)
	v_lshlrev_b32_e32 v17, 8, v17
	v_lshlrev_b32_e32 v18, 16, v18
	;; [unrolled: 1-line block ×3, first 2 shown]
	v_perm_b32 v8, v9, v8, 0xc0c0500
	v_and_b32_e32 v9, 0xff0000, v10
	v_lshlrev_b32_e32 v10, 24, v19
	v_cndmask_b32_e32 v60, 0, v52, vcc_lo
	s_clause 0x1
	scratch_load_b128 v[52:55], off, off offset:304
	scratch_load_b128 v[56:59], off, off offset:320
	v_cmp_gt_i32_e32 vcc_lo, s39, v0
	v_perm_b32 v16, v17, v16, 0xc0c0500
	v_and_b32_e32 v17, 0xff0000, v18
	v_lshrrev_b32_e32 v61, 8, v60
	v_lshrrev_b32_e32 v62, 16, v60
	;; [unrolled: 1-line block ×3, first 2 shown]
	v_add_nc_u16 v64, v60, v12
	s_and_b32 s1, s0, vcc_lo
	v_add_nc_u16 v65, v61, v13
	v_add_nc_u16 v66, v62, v14
	;; [unrolled: 1-line block ×3, first 2 shown]
	v_bfe_i32 v64, v64, 0, 8
	s_clause 0x1
	scratch_load_b128 v[12:15], off, off offset:352
	scratch_load_b128 v[60:63], off, off offset:336
	v_bfe_i32 v65, v65, 0, 8
	v_bfe_i32 v66, v66, 0, 8
	;; [unrolled: 1-line block ×3, first 2 shown]
	v_max_i16 v64, v64, 0
	scratch_load_b128 v[68:71], off, off offset:368
	v_max_i16 v65, v65, 0
	v_max_i16 v66, v66, 0
	;; [unrolled: 1-line block ×3, first 2 shown]
	v_and_b32_e32 v64, 0xffff, v64
	v_cndmask_b32_e64 v74, 0x80000000, 0, s1
	v_and_b32_e32 v65, 0xffff, v65
	v_and_b32_e32 v66, 0xffff, v66
	;; [unrolled: 1-line block ×3, first 2 shown]
	v_cmp_gt_i32_e64 s1, s39, v2
	v_mad_u64_u32 v[2:3], null, v0, s19, v[1:2]
	v_or3_b32 v8, v8, v9, v11
	scratch_store_b128 off, v[64:67], off offset:384
	scratch_load_b128 v[64:67], off, off offset:384
	v_or3_b32 v9, v16, v17, v10
	s_waitcnt vmcnt(13)
	v_lshlrev_b32_e32 v10, 8, v21
	v_lshlrev_b32_e32 v16, 24, v23
	v_add_nc_u32_e32 v3, s16, v2
	s_waitcnt vmcnt(12)
	v_lshlrev_b32_e32 v17, 8, v25
	v_lshlrev_b32_e32 v21, 16, v26
	v_perm_b32 v10, v10, v20, 0xc0c0500
	s_waitcnt vmcnt(11)
	v_lshlrev_b32_e32 v20, 8, v29
	v_add_nc_u32_e32 v6, s18, v3
	v_lshlrev_b32_e32 v23, 16, v30
	s_and_b32 s0, s0, s1
	v_lshlrev_b32_e32 v11, 16, v22
	v_cndmask_b32_e64 v0, 0x80000000, 0, s0
	v_add_nc_u32_e32 v73, s18, v6
	s_and_b32 s0, s2, s1
	v_lshlrev_b32_e32 v22, 24, v27
	v_perm_b32 v17, v17, v24, 0xc0c0500
	v_and_b32_e32 v21, 0xff0000, v21
	v_add_nc_u32_e32 v77, s18, v73
	v_lshlrev_b32_e32 v24, 24, v31
	v_perm_b32 v20, v20, v28, 0xc0c0500
	v_and_b32_e32 v23, 0xff0000, v23
	v_cndmask_b32_e64 v1, 0x80000000, 0, s0
	v_subrev_nc_u32_e32 v80, s16, v77
	s_and_b32 s0, s2, vcc_lo
	v_and_b32_e32 v11, 0xff0000, v11
	v_cndmask_b32_e64 v4, 0x80000000, 0, s0
	s_and_b32 s0, s3, vcc_lo
	v_lshl_add_u32 v83, s20, 6, v80
	v_cndmask_b32_e64 v5, 0x80000000, 0, s0
	s_and_b32 s0, s3, s1
	v_or3_b32 v17, v17, v21, v22
	v_or3_b32 v20, v20, v23, v24
	s_waitcnt vmcnt(9)
	v_lshlrev_b32_e32 v22, 8, v37
	v_lshlrev_b32_e32 v23, 16, v38
	v_cndmask_b32_e64 v7, 0x80000000, 0, s0
	s_and_b32 s0, s4, s1
	v_or3_b32 v10, v10, v11, v16
	v_cndmask_b32_e64 v72, 0x80000000, 0, s0
	s_and_b32 s0, s4, vcc_lo
	v_lshlrev_b32_e32 v11, 8, v33
	v_subrev_nc_u32_e32 v86, s18, v83
	v_lshlrev_b32_e32 v16, 16, v34
	v_lshlrev_b32_e32 v24, 24, v39
	v_perm_b32 v22, v22, v36, 0xc0c0500
	v_and_b32_e32 v23, 0xff0000, v23
	v_cndmask_b32_e64 v75, 0x80000000, 0, s0
	s_and_b32 s0, s5, vcc_lo
	v_perm_b32 v11, v11, v32, 0xc0c0500
	v_cndmask_b32_e64 v76, 0x80000000, 0, s0
	s_and_b32 s0, s5, s1
	v_add_nc_u32_e32 v88, s18, v2
	v_cndmask_b32_e64 v78, 0x80000000, 0, s0
	s_and_b32 s0, s6, s1
	v_add_nc_u32_e32 v2, v74, v2
	v_subrev_nc_u32_e32 v74, s16, v86
	v_lshlrev_b32_e32 v21, 24, v35
	v_and_b32_e32 v16, 0xff0000, v16
	s_waitcnt vmcnt(8)
	v_lshlrev_b32_e32 v25, 8, v41
	v_lshlrev_b32_e32 v26, 16, v42
	v_or3_b32 v22, v22, v23, v24
	s_waitcnt vmcnt(7)
	v_lshlrev_b32_e32 v23, 8, v45
	v_lshlrev_b32_e32 v24, 16, v46
	v_cndmask_b32_e64 v79, 0x80000000, 0, s0
	s_and_b32 s0, s7, vcc_lo
	v_add_nc_u32_e32 v0, v0, v3
	v_cndmask_b32_e64 v81, 0x80000000, 0, s0
	s_and_b32 s0, s8, vcc_lo
	v_add_nc_u32_e32 v3, v88, v4
	v_add3_u32 v4, v5, s18, v88
	v_subrev_nc_u32_e32 v5, s18, v74
	v_or3_b32 v11, v11, v16, v21
	v_perm_b32 v21, v25, v40, 0xc0c0500
	v_and_b32_e32 v25, 0xff0000, v26
	v_lshlrev_b32_e32 v26, 24, v47
	v_perm_b32 v23, v23, v44, 0xc0c0500
	v_and_b32_e32 v24, 0xff0000, v24
	v_cndmask_b32_e64 v82, 0x80000000, 0, s0
	s_and_b32 s0, s9, s1
	s_clause 0x1
	buffer_store_b32 v8, v2, s[12:15], 0 offen
	buffer_store_b32 v9, v0, s[12:15], 0 offen
	v_cndmask_b32_e64 v84, 0x80000000, 0, s0
	s_and_b32 s0, s11, vcc_lo
	v_add_nc_u32_e32 v1, v1, v6
	v_cndmask_b32_e64 v85, 0x80000000, 0, s0
	v_add_nc_u32_e32 v6, v73, v7
	v_add_nc_u32_e32 v7, v77, v72
	;; [unrolled: 1-line block ×4, first 2 shown]
	v_lshlrev_b32_e32 v16, 24, v43
	s_waitcnt vmcnt(6)
	v_lshlrev_b32_e32 v27, 8, v49
	v_lshlrev_b32_e32 v28, 16, v50
	v_or3_b32 v23, v23, v24, v26
	s_and_b32 s0, s10, s1
	v_subrev_nc_u32_e32 v85, s16, v85
	v_cndmask_b32_e64 v87, 0x80000000, 0, s0
	v_add3_u32 v73, v76, s17, v80
	v_add_nc_u32_e32 v76, v83, v78
	v_subrev_nc_u32_e32 v78, s18, v75
	v_or3_b32 v16, v21, v25, v16
	v_lshlrev_b32_e32 v21, 24, v51
	v_perm_b32 v25, v27, v48, 0xc0c0500
	v_and_b32_e32 v27, 0xff0000, v28
	s_clause 0x2
	buffer_store_b32 v10, v1, s[12:15], 0 offen
	buffer_store_b32 v17, v3, s[12:15], 0 offen
	;; [unrolled: 1-line block ×3, first 2 shown]
	v_add_nc_u32_e32 v77, v86, v79
	v_add_nc_u32_e32 v74, v74, v81
	v_add_nc_u32_e32 v5, v5, v82
	v_add_nc_u32_e32 v18, v75, v84
	v_add_nc_u32_e32 v19, v78, v87
	v_add_nc_u32_e32 v75, v85, v78
	v_or3_b32 v21, v25, v27, v21
	s_waitcnt vmcnt(5)
	v_lshlrev_b32_e32 v24, 8, v53
	v_lshlrev_b32_e32 v26, 16, v54
	s_waitcnt vmcnt(4)
	v_lshlrev_b32_e32 v29, 8, v57
	v_lshlrev_b32_e32 v30, 16, v58
	;; [unrolled: 1-line block ×3, first 2 shown]
	v_perm_b32 v24, v24, v52, 0xc0c0500
	v_and_b32_e32 v26, 0xff0000, v26
	v_lshlrev_b32_e32 v31, 24, v59
	v_perm_b32 v29, v29, v56, 0xc0c0500
	v_and_b32_e32 v30, 0xff0000, v30
	s_delay_alu instid0(VALU_DEP_4)
	v_or3_b32 v24, v24, v26, v28
	s_waitcnt vmcnt(3)
	v_lshlrev_b32_e32 v13, 8, v13
	v_lshlrev_b32_e32 v14, 16, v14
	s_waitcnt vmcnt(2)
	v_lshlrev_b32_e32 v32, 8, v61
	v_lshlrev_b32_e32 v33, 16, v62
	v_lshlrev_b32_e32 v15, 24, v15
	v_lshlrev_b32_e32 v34, 24, v63
	v_perm_b32 v12, v13, v12, 0xc0c0500
	v_and_b32_e32 v13, 0xff0000, v14
	v_perm_b32 v14, v32, v60, 0xc0c0500
	v_and_b32_e32 v32, 0xff0000, v33
	s_waitcnt vmcnt(1)
	v_lshlrev_b32_e32 v0, 8, v69
	v_lshlrev_b32_e32 v2, 16, v70
	v_or3_b32 v12, v12, v13, v15
	v_lshlrev_b32_e32 v8, 24, v71
	v_or3_b32 v13, v14, v32, v34
	v_perm_b32 v0, v0, v68, 0xc0c0500
	v_and_b32_e32 v2, 0xff0000, v2
	v_or3_b32 v25, v29, v30, v31
	s_waitcnt vmcnt(0)
	v_lshlrev_b32_e32 v9, 8, v65
	v_lshlrev_b32_e32 v14, 16, v66
	;; [unrolled: 1-line block ×3, first 2 shown]
	v_or3_b32 v0, v0, v2, v8
	s_delay_alu instid0(VALU_DEP_4) | instskip(NEXT) | instid1(VALU_DEP_4)
	v_perm_b32 v9, v9, v64, 0xc0c0500
	v_and_b32_e32 v14, 0xff0000, v14
	s_delay_alu instid0(VALU_DEP_1)
	v_or3_b32 v1, v9, v14, v15
	s_clause 0xa
	buffer_store_b32 v11, v6, s[12:15], 0 offen
	buffer_store_b32 v22, v7, s[12:15], 0 offen
	;; [unrolled: 1-line block ×11, first 2 shown]
	s_endpgm
	.section	.rodata,"a",@progbits
	.p2align	6, 0x0
	.amdhsa_kernel _ZN2ck16tensor_operation6device12_GLOBAL__N_137kernel_grouped_conv_fwd_dl_multiple_dINS_32GridwiseGemmDlMultipleD_km_kn_mnILi256EaiNS_5TupleIJaEEEaNS0_12element_wise11PassThroughES8_NS7_7AddReluELNS_25InMemoryDataOperationEnumE0ENS_16TensorDescriptorINS5_IJNS_5EmbedINS5_IJiiiiiEEESD_Lb0EEENS_11PassThroughIiEENS_3PadIiiiLb0EEESI_SI_SG_SG_NSC_INS5_IJiiEEESJ_Lb0EEESK_SK_SG_NS_23Merge_v2_magic_divisionINS5_IJiiiiEEEEESN_NS_8RightPadIiiLb0EEESP_NS_7UnMergeISJ_Lb0EEESG_EEENS5_IJNS_8SequenceIJLi0EEEENST_IJLi1EEEENST_IJLi2EEEENST_IJLi3EEEENST_IJLi4EEEENST_IJLi5EEEENST_IJLi6EEEENST_IJLi7EEEENST_IJLi8EEEENST_IJLi9EEEENST_IJLi10EEEENST_IJLi11ELi13ELi15ELi17EEEENST_IJLi12ELi14ELi16ELi18EEEENST_IJLi19EEEENST_IJLi20EEEENST_IJLi22EEEENST_IJLi21EEEEEEENS5_IJNST_IJLi1ELi2ELi3ELi4ELi5EEEES10_S11_S12_S13_S14_NST_IJLi11EEEENST_IJLi12ELi13EEEENST_IJLi14ELi15EEEENST_IJLi16ELi17EEEENST_IJLi18EEEES17_S18_S1A_S19_NST_IJLi23ELi24EEEENST_IJLi25EEEEEEENST_IJLi23ELi25ELi24EEEElEENSB_INS5_IJSR_SP_SP_SR_SG_EEENS5_IJSU_SV_SW_SY_SX_EEENS5_IJNST_IJLi1ELi2EEEESX_SY_NST_IJLi5ELi6EEEES11_EEENST_IJLi5ELi7ELi6EEEElEENSB_INS5_IJSK_SP_SP_EEENS5_IJSU_SV_SW_EEENS5_IJS1P_SX_SY_EEENST_IJLi3ELi4EEEElEELi128ELi128ELi16ELi4ELi4ELi4ELi1ENST_IJLi8ELi2EEEES1Z_NST_IJLi8ELi1ELi1ELi4EEEENST_IJLi2ELi1ELi128ELi1EEEENST_IJLi1ELi2ELi0ELi3EEEES22_NST_IJLi4ELi1ELi1ELi4EEEES22_NST_IJLi1ELi1ELi1ELi4EEEES20_S21_S22_S22_S23_S22_S24_NST_IJLi0ELi1ELi2ELi3ELi4ELi5EEEELi5ELi4EEEaNS5_IJPKaEEEaS8_S8_S9_NSB_INS5_IJSE_SG_SI_SI_SI_SG_SG_SK_SK_SK_SG_SN_SN_SP_SP_SR_SG_SG_NSQ_INS5_IJiNS_17integral_constantIiLi128EEEEEELb0EEENSF_INS2A_IiLi4EEEEEEEENS5_IJSU_SV_SW_SX_SY_SZ_S10_S11_S12_S13_S14_S15_S16_S17_S18_S19_S1A_NST_IJLi23EEEES1J_NST_IJLi24EEEEEEENS5_IJS1C_S10_S11_S12_S13_S14_S1D_S1E_S1F_S1G_S1H_S17_S18_S1A_S19_S1I_S1J_NST_IJLi26EEEENST_IJLi27ELi28EEEENST_IJLi29EEEEEEENST_IJLi26ELi27ELi28ELi29EEEElEENSB_INS5_IJSR_SP_SP_SR_SG_SG_S2D_S2F_EEENS5_IJSU_SV_SW_SY_SX_SZ_S11_S10_EEENS5_IJS1P_SX_SY_S1Q_S11_S12_NST_IJLi9ELi10EEEES1D_EEENST_IJLi8ELi9ELi10ELi11EEEElEENS5_IJNSB_INS5_IJSK_SP_SP_NSQ_INS5_IJiNS2A_IiLi2EEENS2A_IiLi64EEEEEELb0EEES2Z_EEENS5_IJSU_SV_SW_SX_SY_EEENS5_IJS1P_SX_SY_NST_IJLi5ELi6ELi7EEEENST_IJLi8ELi9ELi10EEEEEEENST_IJLi5ELi6ELi7ELi8ELi9ELi10EEEElEEEEES36_NS_31BlockToCTileMap_M00_N00_M01_N01ILi128ELi128ES1Y_Lb0EEENS1_30ComputePtrOffsetOfStridedBatchILi1ELi1ELi1EvEELb1ELb1EEEvPKT0_S3E_T1_PT2_T3_T4_T5_iT6_T7_T8_T9_T10_T11_
		.amdhsa_group_segment_fixed_size 32768
		.amdhsa_private_segment_fixed_size 480
		.amdhsa_kernarg_size 1024
		.amdhsa_user_sgpr_count 15
		.amdhsa_user_sgpr_dispatch_ptr 0
		.amdhsa_user_sgpr_queue_ptr 0
		.amdhsa_user_sgpr_kernarg_segment_ptr 1
		.amdhsa_user_sgpr_dispatch_id 0
		.amdhsa_user_sgpr_private_segment_size 0
		.amdhsa_wavefront_size32 1
		.amdhsa_uses_dynamic_stack 0
		.amdhsa_enable_private_segment 1
		.amdhsa_system_sgpr_workgroup_id_x 1
		.amdhsa_system_sgpr_workgroup_id_y 0
		.amdhsa_system_sgpr_workgroup_id_z 0
		.amdhsa_system_sgpr_workgroup_info 0
		.amdhsa_system_vgpr_workitem_id 0
		.amdhsa_next_free_vgpr 115
		.amdhsa_next_free_sgpr 100
		.amdhsa_reserve_vcc 1
		.amdhsa_float_round_mode_32 0
		.amdhsa_float_round_mode_16_64 0
		.amdhsa_float_denorm_mode_32 3
		.amdhsa_float_denorm_mode_16_64 3
		.amdhsa_dx10_clamp 1
		.amdhsa_ieee_mode 1
		.amdhsa_fp16_overflow 0
		.amdhsa_workgroup_processor_mode 1
		.amdhsa_memory_ordered 1
		.amdhsa_forward_progress 0
		.amdhsa_shared_vgpr_count 0
		.amdhsa_exception_fp_ieee_invalid_op 0
		.amdhsa_exception_fp_denorm_src 0
		.amdhsa_exception_fp_ieee_div_zero 0
		.amdhsa_exception_fp_ieee_overflow 0
		.amdhsa_exception_fp_ieee_underflow 0
		.amdhsa_exception_fp_ieee_inexact 0
		.amdhsa_exception_int_div_zero 0
	.end_amdhsa_kernel
	.section	.text._ZN2ck16tensor_operation6device12_GLOBAL__N_137kernel_grouped_conv_fwd_dl_multiple_dINS_32GridwiseGemmDlMultipleD_km_kn_mnILi256EaiNS_5TupleIJaEEEaNS0_12element_wise11PassThroughES8_NS7_7AddReluELNS_25InMemoryDataOperationEnumE0ENS_16TensorDescriptorINS5_IJNS_5EmbedINS5_IJiiiiiEEESD_Lb0EEENS_11PassThroughIiEENS_3PadIiiiLb0EEESI_SI_SG_SG_NSC_INS5_IJiiEEESJ_Lb0EEESK_SK_SG_NS_23Merge_v2_magic_divisionINS5_IJiiiiEEEEESN_NS_8RightPadIiiLb0EEESP_NS_7UnMergeISJ_Lb0EEESG_EEENS5_IJNS_8SequenceIJLi0EEEENST_IJLi1EEEENST_IJLi2EEEENST_IJLi3EEEENST_IJLi4EEEENST_IJLi5EEEENST_IJLi6EEEENST_IJLi7EEEENST_IJLi8EEEENST_IJLi9EEEENST_IJLi10EEEENST_IJLi11ELi13ELi15ELi17EEEENST_IJLi12ELi14ELi16ELi18EEEENST_IJLi19EEEENST_IJLi20EEEENST_IJLi22EEEENST_IJLi21EEEEEEENS5_IJNST_IJLi1ELi2ELi3ELi4ELi5EEEES10_S11_S12_S13_S14_NST_IJLi11EEEENST_IJLi12ELi13EEEENST_IJLi14ELi15EEEENST_IJLi16ELi17EEEENST_IJLi18EEEES17_S18_S1A_S19_NST_IJLi23ELi24EEEENST_IJLi25EEEEEEENST_IJLi23ELi25ELi24EEEElEENSB_INS5_IJSR_SP_SP_SR_SG_EEENS5_IJSU_SV_SW_SY_SX_EEENS5_IJNST_IJLi1ELi2EEEESX_SY_NST_IJLi5ELi6EEEES11_EEENST_IJLi5ELi7ELi6EEEElEENSB_INS5_IJSK_SP_SP_EEENS5_IJSU_SV_SW_EEENS5_IJS1P_SX_SY_EEENST_IJLi3ELi4EEEElEELi128ELi128ELi16ELi4ELi4ELi4ELi1ENST_IJLi8ELi2EEEES1Z_NST_IJLi8ELi1ELi1ELi4EEEENST_IJLi2ELi1ELi128ELi1EEEENST_IJLi1ELi2ELi0ELi3EEEES22_NST_IJLi4ELi1ELi1ELi4EEEES22_NST_IJLi1ELi1ELi1ELi4EEEES20_S21_S22_S22_S23_S22_S24_NST_IJLi0ELi1ELi2ELi3ELi4ELi5EEEELi5ELi4EEEaNS5_IJPKaEEEaS8_S8_S9_NSB_INS5_IJSE_SG_SI_SI_SI_SG_SG_SK_SK_SK_SG_SN_SN_SP_SP_SR_SG_SG_NSQ_INS5_IJiNS_17integral_constantIiLi128EEEEEELb0EEENSF_INS2A_IiLi4EEEEEEEENS5_IJSU_SV_SW_SX_SY_SZ_S10_S11_S12_S13_S14_S15_S16_S17_S18_S19_S1A_NST_IJLi23EEEES1J_NST_IJLi24EEEEEEENS5_IJS1C_S10_S11_S12_S13_S14_S1D_S1E_S1F_S1G_S1H_S17_S18_S1A_S19_S1I_S1J_NST_IJLi26EEEENST_IJLi27ELi28EEEENST_IJLi29EEEEEEENST_IJLi26ELi27ELi28ELi29EEEElEENSB_INS5_IJSR_SP_SP_SR_SG_SG_S2D_S2F_EEENS5_IJSU_SV_SW_SY_SX_SZ_S11_S10_EEENS5_IJS1P_SX_SY_S1Q_S11_S12_NST_IJLi9ELi10EEEES1D_EEENST_IJLi8ELi9ELi10ELi11EEEElEENS5_IJNSB_INS5_IJSK_SP_SP_NSQ_INS5_IJiNS2A_IiLi2EEENS2A_IiLi64EEEEEELb0EEES2Z_EEENS5_IJSU_SV_SW_SX_SY_EEENS5_IJS1P_SX_SY_NST_IJLi5ELi6ELi7EEEENST_IJLi8ELi9ELi10EEEEEEENST_IJLi5ELi6ELi7ELi8ELi9ELi10EEEElEEEEES36_NS_31BlockToCTileMap_M00_N00_M01_N01ILi128ELi128ES1Y_Lb0EEENS1_30ComputePtrOffsetOfStridedBatchILi1ELi1ELi1EvEELb1ELb1EEEvPKT0_S3E_T1_PT2_T3_T4_T5_iT6_T7_T8_T9_T10_T11_,"axG",@progbits,_ZN2ck16tensor_operation6device12_GLOBAL__N_137kernel_grouped_conv_fwd_dl_multiple_dINS_32GridwiseGemmDlMultipleD_km_kn_mnILi256EaiNS_5TupleIJaEEEaNS0_12element_wise11PassThroughES8_NS7_7AddReluELNS_25InMemoryDataOperationEnumE0ENS_16TensorDescriptorINS5_IJNS_5EmbedINS5_IJiiiiiEEESD_Lb0EEENS_11PassThroughIiEENS_3PadIiiiLb0EEESI_SI_SG_SG_NSC_INS5_IJiiEEESJ_Lb0EEESK_SK_SG_NS_23Merge_v2_magic_divisionINS5_IJiiiiEEEEESN_NS_8RightPadIiiLb0EEESP_NS_7UnMergeISJ_Lb0EEESG_EEENS5_IJNS_8SequenceIJLi0EEEENST_IJLi1EEEENST_IJLi2EEEENST_IJLi3EEEENST_IJLi4EEEENST_IJLi5EEEENST_IJLi6EEEENST_IJLi7EEEENST_IJLi8EEEENST_IJLi9EEEENST_IJLi10EEEENST_IJLi11ELi13ELi15ELi17EEEENST_IJLi12ELi14ELi16ELi18EEEENST_IJLi19EEEENST_IJLi20EEEENST_IJLi22EEEENST_IJLi21EEEEEEENS5_IJNST_IJLi1ELi2ELi3ELi4ELi5EEEES10_S11_S12_S13_S14_NST_IJLi11EEEENST_IJLi12ELi13EEEENST_IJLi14ELi15EEEENST_IJLi16ELi17EEEENST_IJLi18EEEES17_S18_S1A_S19_NST_IJLi23ELi24EEEENST_IJLi25EEEEEEENST_IJLi23ELi25ELi24EEEElEENSB_INS5_IJSR_SP_SP_SR_SG_EEENS5_IJSU_SV_SW_SY_SX_EEENS5_IJNST_IJLi1ELi2EEEESX_SY_NST_IJLi5ELi6EEEES11_EEENST_IJLi5ELi7ELi6EEEElEENSB_INS5_IJSK_SP_SP_EEENS5_IJSU_SV_SW_EEENS5_IJS1P_SX_SY_EEENST_IJLi3ELi4EEEElEELi128ELi128ELi16ELi4ELi4ELi4ELi1ENST_IJLi8ELi2EEEES1Z_NST_IJLi8ELi1ELi1ELi4EEEENST_IJLi2ELi1ELi128ELi1EEEENST_IJLi1ELi2ELi0ELi3EEEES22_NST_IJLi4ELi1ELi1ELi4EEEES22_NST_IJLi1ELi1ELi1ELi4EEEES20_S21_S22_S22_S23_S22_S24_NST_IJLi0ELi1ELi2ELi3ELi4ELi5EEEELi5ELi4EEEaNS5_IJPKaEEEaS8_S8_S9_NSB_INS5_IJSE_SG_SI_SI_SI_SG_SG_SK_SK_SK_SG_SN_SN_SP_SP_SR_SG_SG_NSQ_INS5_IJiNS_17integral_constantIiLi128EEEEEELb0EEENSF_INS2A_IiLi4EEEEEEEENS5_IJSU_SV_SW_SX_SY_SZ_S10_S11_S12_S13_S14_S15_S16_S17_S18_S19_S1A_NST_IJLi23EEEES1J_NST_IJLi24EEEEEEENS5_IJS1C_S10_S11_S12_S13_S14_S1D_S1E_S1F_S1G_S1H_S17_S18_S1A_S19_S1I_S1J_NST_IJLi26EEEENST_IJLi27ELi28EEEENST_IJLi29EEEEEEENST_IJLi26ELi27ELi28ELi29EEEElEENSB_INS5_IJSR_SP_SP_SR_SG_SG_S2D_S2F_EEENS5_IJSU_SV_SW_SY_SX_SZ_S11_S10_EEENS5_IJS1P_SX_SY_S1Q_S11_S12_NST_IJLi9ELi10EEEES1D_EEENST_IJLi8ELi9ELi10ELi11EEEElEENS5_IJNSB_INS5_IJSK_SP_SP_NSQ_INS5_IJiNS2A_IiLi2EEENS2A_IiLi64EEEEEELb0EEES2Z_EEENS5_IJSU_SV_SW_SX_SY_EEENS5_IJS1P_SX_SY_NST_IJLi5ELi6ELi7EEEENST_IJLi8ELi9ELi10EEEEEEENST_IJLi5ELi6ELi7ELi8ELi9ELi10EEEElEEEEES36_NS_31BlockToCTileMap_M00_N00_M01_N01ILi128ELi128ES1Y_Lb0EEENS1_30ComputePtrOffsetOfStridedBatchILi1ELi1ELi1EvEELb1ELb1EEEvPKT0_S3E_T1_PT2_T3_T4_T5_iT6_T7_T8_T9_T10_T11_,comdat
.Lfunc_end10:
	.size	_ZN2ck16tensor_operation6device12_GLOBAL__N_137kernel_grouped_conv_fwd_dl_multiple_dINS_32GridwiseGemmDlMultipleD_km_kn_mnILi256EaiNS_5TupleIJaEEEaNS0_12element_wise11PassThroughES8_NS7_7AddReluELNS_25InMemoryDataOperationEnumE0ENS_16TensorDescriptorINS5_IJNS_5EmbedINS5_IJiiiiiEEESD_Lb0EEENS_11PassThroughIiEENS_3PadIiiiLb0EEESI_SI_SG_SG_NSC_INS5_IJiiEEESJ_Lb0EEESK_SK_SG_NS_23Merge_v2_magic_divisionINS5_IJiiiiEEEEESN_NS_8RightPadIiiLb0EEESP_NS_7UnMergeISJ_Lb0EEESG_EEENS5_IJNS_8SequenceIJLi0EEEENST_IJLi1EEEENST_IJLi2EEEENST_IJLi3EEEENST_IJLi4EEEENST_IJLi5EEEENST_IJLi6EEEENST_IJLi7EEEENST_IJLi8EEEENST_IJLi9EEEENST_IJLi10EEEENST_IJLi11ELi13ELi15ELi17EEEENST_IJLi12ELi14ELi16ELi18EEEENST_IJLi19EEEENST_IJLi20EEEENST_IJLi22EEEENST_IJLi21EEEEEEENS5_IJNST_IJLi1ELi2ELi3ELi4ELi5EEEES10_S11_S12_S13_S14_NST_IJLi11EEEENST_IJLi12ELi13EEEENST_IJLi14ELi15EEEENST_IJLi16ELi17EEEENST_IJLi18EEEES17_S18_S1A_S19_NST_IJLi23ELi24EEEENST_IJLi25EEEEEEENST_IJLi23ELi25ELi24EEEElEENSB_INS5_IJSR_SP_SP_SR_SG_EEENS5_IJSU_SV_SW_SY_SX_EEENS5_IJNST_IJLi1ELi2EEEESX_SY_NST_IJLi5ELi6EEEES11_EEENST_IJLi5ELi7ELi6EEEElEENSB_INS5_IJSK_SP_SP_EEENS5_IJSU_SV_SW_EEENS5_IJS1P_SX_SY_EEENST_IJLi3ELi4EEEElEELi128ELi128ELi16ELi4ELi4ELi4ELi1ENST_IJLi8ELi2EEEES1Z_NST_IJLi8ELi1ELi1ELi4EEEENST_IJLi2ELi1ELi128ELi1EEEENST_IJLi1ELi2ELi0ELi3EEEES22_NST_IJLi4ELi1ELi1ELi4EEEES22_NST_IJLi1ELi1ELi1ELi4EEEES20_S21_S22_S22_S23_S22_S24_NST_IJLi0ELi1ELi2ELi3ELi4ELi5EEEELi5ELi4EEEaNS5_IJPKaEEEaS8_S8_S9_NSB_INS5_IJSE_SG_SI_SI_SI_SG_SG_SK_SK_SK_SG_SN_SN_SP_SP_SR_SG_SG_NSQ_INS5_IJiNS_17integral_constantIiLi128EEEEEELb0EEENSF_INS2A_IiLi4EEEEEEEENS5_IJSU_SV_SW_SX_SY_SZ_S10_S11_S12_S13_S14_S15_S16_S17_S18_S19_S1A_NST_IJLi23EEEES1J_NST_IJLi24EEEEEEENS5_IJS1C_S10_S11_S12_S13_S14_S1D_S1E_S1F_S1G_S1H_S17_S18_S1A_S19_S1I_S1J_NST_IJLi26EEEENST_IJLi27ELi28EEEENST_IJLi29EEEEEEENST_IJLi26ELi27ELi28ELi29EEEElEENSB_INS5_IJSR_SP_SP_SR_SG_SG_S2D_S2F_EEENS5_IJSU_SV_SW_SY_SX_SZ_S11_S10_EEENS5_IJS1P_SX_SY_S1Q_S11_S12_NST_IJLi9ELi10EEEES1D_EEENST_IJLi8ELi9ELi10ELi11EEEElEENS5_IJNSB_INS5_IJSK_SP_SP_NSQ_INS5_IJiNS2A_IiLi2EEENS2A_IiLi64EEEEEELb0EEES2Z_EEENS5_IJSU_SV_SW_SX_SY_EEENS5_IJS1P_SX_SY_NST_IJLi5ELi6ELi7EEEENST_IJLi8ELi9ELi10EEEEEEENST_IJLi5ELi6ELi7ELi8ELi9ELi10EEEElEEEEES36_NS_31BlockToCTileMap_M00_N00_M01_N01ILi128ELi128ES1Y_Lb0EEENS1_30ComputePtrOffsetOfStridedBatchILi1ELi1ELi1EvEELb1ELb1EEEvPKT0_S3E_T1_PT2_T3_T4_T5_iT6_T7_T8_T9_T10_T11_, .Lfunc_end10-_ZN2ck16tensor_operation6device12_GLOBAL__N_137kernel_grouped_conv_fwd_dl_multiple_dINS_32GridwiseGemmDlMultipleD_km_kn_mnILi256EaiNS_5TupleIJaEEEaNS0_12element_wise11PassThroughES8_NS7_7AddReluELNS_25InMemoryDataOperationEnumE0ENS_16TensorDescriptorINS5_IJNS_5EmbedINS5_IJiiiiiEEESD_Lb0EEENS_11PassThroughIiEENS_3PadIiiiLb0EEESI_SI_SG_SG_NSC_INS5_IJiiEEESJ_Lb0EEESK_SK_SG_NS_23Merge_v2_magic_divisionINS5_IJiiiiEEEEESN_NS_8RightPadIiiLb0EEESP_NS_7UnMergeISJ_Lb0EEESG_EEENS5_IJNS_8SequenceIJLi0EEEENST_IJLi1EEEENST_IJLi2EEEENST_IJLi3EEEENST_IJLi4EEEENST_IJLi5EEEENST_IJLi6EEEENST_IJLi7EEEENST_IJLi8EEEENST_IJLi9EEEENST_IJLi10EEEENST_IJLi11ELi13ELi15ELi17EEEENST_IJLi12ELi14ELi16ELi18EEEENST_IJLi19EEEENST_IJLi20EEEENST_IJLi22EEEENST_IJLi21EEEEEEENS5_IJNST_IJLi1ELi2ELi3ELi4ELi5EEEES10_S11_S12_S13_S14_NST_IJLi11EEEENST_IJLi12ELi13EEEENST_IJLi14ELi15EEEENST_IJLi16ELi17EEEENST_IJLi18EEEES17_S18_S1A_S19_NST_IJLi23ELi24EEEENST_IJLi25EEEEEEENST_IJLi23ELi25ELi24EEEElEENSB_INS5_IJSR_SP_SP_SR_SG_EEENS5_IJSU_SV_SW_SY_SX_EEENS5_IJNST_IJLi1ELi2EEEESX_SY_NST_IJLi5ELi6EEEES11_EEENST_IJLi5ELi7ELi6EEEElEENSB_INS5_IJSK_SP_SP_EEENS5_IJSU_SV_SW_EEENS5_IJS1P_SX_SY_EEENST_IJLi3ELi4EEEElEELi128ELi128ELi16ELi4ELi4ELi4ELi1ENST_IJLi8ELi2EEEES1Z_NST_IJLi8ELi1ELi1ELi4EEEENST_IJLi2ELi1ELi128ELi1EEEENST_IJLi1ELi2ELi0ELi3EEEES22_NST_IJLi4ELi1ELi1ELi4EEEES22_NST_IJLi1ELi1ELi1ELi4EEEES20_S21_S22_S22_S23_S22_S24_NST_IJLi0ELi1ELi2ELi3ELi4ELi5EEEELi5ELi4EEEaNS5_IJPKaEEEaS8_S8_S9_NSB_INS5_IJSE_SG_SI_SI_SI_SG_SG_SK_SK_SK_SG_SN_SN_SP_SP_SR_SG_SG_NSQ_INS5_IJiNS_17integral_constantIiLi128EEEEEELb0EEENSF_INS2A_IiLi4EEEEEEEENS5_IJSU_SV_SW_SX_SY_SZ_S10_S11_S12_S13_S14_S15_S16_S17_S18_S19_S1A_NST_IJLi23EEEES1J_NST_IJLi24EEEEEEENS5_IJS1C_S10_S11_S12_S13_S14_S1D_S1E_S1F_S1G_S1H_S17_S18_S1A_S19_S1I_S1J_NST_IJLi26EEEENST_IJLi27ELi28EEEENST_IJLi29EEEEEEENST_IJLi26ELi27ELi28ELi29EEEElEENSB_INS5_IJSR_SP_SP_SR_SG_SG_S2D_S2F_EEENS5_IJSU_SV_SW_SY_SX_SZ_S11_S10_EEENS5_IJS1P_SX_SY_S1Q_S11_S12_NST_IJLi9ELi10EEEES1D_EEENST_IJLi8ELi9ELi10ELi11EEEElEENS5_IJNSB_INS5_IJSK_SP_SP_NSQ_INS5_IJiNS2A_IiLi2EEENS2A_IiLi64EEEEEELb0EEES2Z_EEENS5_IJSU_SV_SW_SX_SY_EEENS5_IJS1P_SX_SY_NST_IJLi5ELi6ELi7EEEENST_IJLi8ELi9ELi10EEEEEEENST_IJLi5ELi6ELi7ELi8ELi9ELi10EEEElEEEEES36_NS_31BlockToCTileMap_M00_N00_M01_N01ILi128ELi128ES1Y_Lb0EEENS1_30ComputePtrOffsetOfStridedBatchILi1ELi1ELi1EvEELb1ELb1EEEvPKT0_S3E_T1_PT2_T3_T4_T5_iT6_T7_T8_T9_T10_T11_
                                        ; -- End function
	.section	.AMDGPU.csdata,"",@progbits
; Kernel info:
; codeLenInByte = 15368
; NumSgprs: 102
; NumVgprs: 115
; ScratchSize: 480
; MemoryBound: 0
; FloatMode: 240
; IeeeMode: 1
; LDSByteSize: 32768 bytes/workgroup (compile time only)
; SGPRBlocks: 12
; VGPRBlocks: 14
; NumSGPRsForWavesPerEU: 102
; NumVGPRsForWavesPerEU: 115
; Occupancy: 8
; WaveLimiterHint : 1
; COMPUTE_PGM_RSRC2:SCRATCH_EN: 1
; COMPUTE_PGM_RSRC2:USER_SGPR: 15
; COMPUTE_PGM_RSRC2:TRAP_HANDLER: 0
; COMPUTE_PGM_RSRC2:TGID_X_EN: 1
; COMPUTE_PGM_RSRC2:TGID_Y_EN: 0
; COMPUTE_PGM_RSRC2:TGID_Z_EN: 0
; COMPUTE_PGM_RSRC2:TIDIG_COMP_CNT: 0
	.section	.text._ZN2ck16tensor_operation6device12_GLOBAL__N_137kernel_grouped_conv_fwd_dl_multiple_dINS_32GridwiseGemmDlMultipleD_km_kn_mnILi256EaiNS_5TupleIJaEEEaNS0_12element_wise11PassThroughES8_NS7_7AddReluELNS_25InMemoryDataOperationEnumE0ENS_16TensorDescriptorINS5_IJNS_5EmbedINS5_IJiiiiiEEESD_Lb0EEENS_11PassThroughIiEENS_3PadIiiiLb0EEESI_SI_SG_SG_NSC_INS5_IJiiEEESJ_Lb0EEESK_SK_SG_NS_23Merge_v2_magic_divisionINS5_IJiiiiEEEEESN_NS_8RightPadIiiLb0EEESP_NS_7UnMergeISJ_Lb0EEESG_EEENS5_IJNS_8SequenceIJLi0EEEENST_IJLi1EEEENST_IJLi2EEEENST_IJLi3EEEENST_IJLi4EEEENST_IJLi5EEEENST_IJLi6EEEENST_IJLi7EEEENST_IJLi8EEEENST_IJLi9EEEENST_IJLi10EEEENST_IJLi11ELi13ELi15ELi17EEEENST_IJLi12ELi14ELi16ELi18EEEENST_IJLi19EEEENST_IJLi20EEEENST_IJLi22EEEENST_IJLi21EEEEEEENS5_IJNST_IJLi1ELi2ELi3ELi4ELi5EEEES10_S11_S12_S13_S14_NST_IJLi11EEEENST_IJLi12ELi13EEEENST_IJLi14ELi15EEEENST_IJLi16ELi17EEEENST_IJLi18EEEES17_S18_S1A_S19_NST_IJLi23ELi24EEEENST_IJLi25EEEEEEENST_IJLi23ELi25ELi24EEEElEENSB_INS5_IJSR_SP_SP_SR_SG_EEENS5_IJSU_SV_SW_SY_SX_EEENS5_IJNST_IJLi1ELi2EEEESX_SY_NST_IJLi5ELi6EEEES11_EEENST_IJLi5ELi7ELi6EEEElEENSB_INS5_IJSK_SP_SP_EEENS5_IJSU_SV_SW_EEENS5_IJS1P_SX_SY_EEENST_IJLi3ELi4EEEElEELi128ELi128ELi16ELi4ELi4ELi4ELi1ENST_IJLi8ELi2EEEES1Z_NST_IJLi8ELi1ELi1ELi4EEEENST_IJLi2ELi1ELi128ELi1EEEENST_IJLi1ELi2ELi0ELi3EEEES22_NST_IJLi4ELi1ELi1ELi4EEEES22_NST_IJLi1ELi1ELi1ELi4EEEES20_S21_S22_S22_S23_S22_S24_NST_IJLi0ELi1ELi2ELi3ELi4ELi5EEEELi5ELi4EEEaNS5_IJPKaEEEaS8_S8_S9_NSB_INS5_IJSE_SG_SI_SI_SI_SG_SG_SK_SK_SK_SG_SN_SN_SP_SP_SR_SG_SG_NSQ_INS5_IJiNS_17integral_constantIiLi128EEEEEELb0EEENSF_INS2A_IiLi4EEEEEEEENS5_IJSU_SV_SW_SX_SY_SZ_S10_S11_S12_S13_S14_S15_S16_S17_S18_S19_S1A_NST_IJLi23EEEES1J_NST_IJLi24EEEEEEENS5_IJS1C_S10_S11_S12_S13_S14_S1D_S1E_S1F_S1G_S1H_S17_S18_S1A_S19_S1I_S1J_NST_IJLi26EEEENST_IJLi27ELi28EEEENST_IJLi29EEEEEEENST_IJLi26ELi27ELi28ELi29EEEElEENSB_INS5_IJSR_SP_SP_SR_SG_SG_S2D_S2F_EEENS5_IJSU_SV_SW_SY_SX_SZ_S11_S10_EEENS5_IJS1P_SX_SY_S1Q_S11_S12_NST_IJLi9ELi10EEEES1D_EEENST_IJLi8ELi9ELi10ELi11EEEElEENS5_IJNSB_INS5_IJSK_SP_SP_NSQ_INS5_IJiNS2A_IiLi2EEENS2A_IiLi64EEEEEELb0EEES2Z_EEENS5_IJSU_SV_SW_SX_SY_EEENS5_IJS1P_SX_SY_NST_IJLi5ELi6ELi7EEEENST_IJLi8ELi9ELi10EEEEEEENST_IJLi5ELi6ELi7ELi8ELi9ELi10EEEElEEEEES36_NS_31BlockToCTileMap_M00_N00_M01_N01ILi128ELi128ES1Y_Lb0EEENS1_30ComputePtrOffsetOfStridedBatchILi1ELi1ELi1EvEELb1ELb0EEEvPKT0_S3E_T1_PT2_T3_T4_T5_iT6_T7_T8_T9_T10_T11_,"axG",@progbits,_ZN2ck16tensor_operation6device12_GLOBAL__N_137kernel_grouped_conv_fwd_dl_multiple_dINS_32GridwiseGemmDlMultipleD_km_kn_mnILi256EaiNS_5TupleIJaEEEaNS0_12element_wise11PassThroughES8_NS7_7AddReluELNS_25InMemoryDataOperationEnumE0ENS_16TensorDescriptorINS5_IJNS_5EmbedINS5_IJiiiiiEEESD_Lb0EEENS_11PassThroughIiEENS_3PadIiiiLb0EEESI_SI_SG_SG_NSC_INS5_IJiiEEESJ_Lb0EEESK_SK_SG_NS_23Merge_v2_magic_divisionINS5_IJiiiiEEEEESN_NS_8RightPadIiiLb0EEESP_NS_7UnMergeISJ_Lb0EEESG_EEENS5_IJNS_8SequenceIJLi0EEEENST_IJLi1EEEENST_IJLi2EEEENST_IJLi3EEEENST_IJLi4EEEENST_IJLi5EEEENST_IJLi6EEEENST_IJLi7EEEENST_IJLi8EEEENST_IJLi9EEEENST_IJLi10EEEENST_IJLi11ELi13ELi15ELi17EEEENST_IJLi12ELi14ELi16ELi18EEEENST_IJLi19EEEENST_IJLi20EEEENST_IJLi22EEEENST_IJLi21EEEEEEENS5_IJNST_IJLi1ELi2ELi3ELi4ELi5EEEES10_S11_S12_S13_S14_NST_IJLi11EEEENST_IJLi12ELi13EEEENST_IJLi14ELi15EEEENST_IJLi16ELi17EEEENST_IJLi18EEEES17_S18_S1A_S19_NST_IJLi23ELi24EEEENST_IJLi25EEEEEEENST_IJLi23ELi25ELi24EEEElEENSB_INS5_IJSR_SP_SP_SR_SG_EEENS5_IJSU_SV_SW_SY_SX_EEENS5_IJNST_IJLi1ELi2EEEESX_SY_NST_IJLi5ELi6EEEES11_EEENST_IJLi5ELi7ELi6EEEElEENSB_INS5_IJSK_SP_SP_EEENS5_IJSU_SV_SW_EEENS5_IJS1P_SX_SY_EEENST_IJLi3ELi4EEEElEELi128ELi128ELi16ELi4ELi4ELi4ELi1ENST_IJLi8ELi2EEEES1Z_NST_IJLi8ELi1ELi1ELi4EEEENST_IJLi2ELi1ELi128ELi1EEEENST_IJLi1ELi2ELi0ELi3EEEES22_NST_IJLi4ELi1ELi1ELi4EEEES22_NST_IJLi1ELi1ELi1ELi4EEEES20_S21_S22_S22_S23_S22_S24_NST_IJLi0ELi1ELi2ELi3ELi4ELi5EEEELi5ELi4EEEaNS5_IJPKaEEEaS8_S8_S9_NSB_INS5_IJSE_SG_SI_SI_SI_SG_SG_SK_SK_SK_SG_SN_SN_SP_SP_SR_SG_SG_NSQ_INS5_IJiNS_17integral_constantIiLi128EEEEEELb0EEENSF_INS2A_IiLi4EEEEEEEENS5_IJSU_SV_SW_SX_SY_SZ_S10_S11_S12_S13_S14_S15_S16_S17_S18_S19_S1A_NST_IJLi23EEEES1J_NST_IJLi24EEEEEEENS5_IJS1C_S10_S11_S12_S13_S14_S1D_S1E_S1F_S1G_S1H_S17_S18_S1A_S19_S1I_S1J_NST_IJLi26EEEENST_IJLi27ELi28EEEENST_IJLi29EEEEEEENST_IJLi26ELi27ELi28ELi29EEEElEENSB_INS5_IJSR_SP_SP_SR_SG_SG_S2D_S2F_EEENS5_IJSU_SV_SW_SY_SX_SZ_S11_S10_EEENS5_IJS1P_SX_SY_S1Q_S11_S12_NST_IJLi9ELi10EEEES1D_EEENST_IJLi8ELi9ELi10ELi11EEEElEENS5_IJNSB_INS5_IJSK_SP_SP_NSQ_INS5_IJiNS2A_IiLi2EEENS2A_IiLi64EEEEEELb0EEES2Z_EEENS5_IJSU_SV_SW_SX_SY_EEENS5_IJS1P_SX_SY_NST_IJLi5ELi6ELi7EEEENST_IJLi8ELi9ELi10EEEEEEENST_IJLi5ELi6ELi7ELi8ELi9ELi10EEEElEEEEES36_NS_31BlockToCTileMap_M00_N00_M01_N01ILi128ELi128ES1Y_Lb0EEENS1_30ComputePtrOffsetOfStridedBatchILi1ELi1ELi1EvEELb1ELb0EEEvPKT0_S3E_T1_PT2_T3_T4_T5_iT6_T7_T8_T9_T10_T11_,comdat
	.globl	_ZN2ck16tensor_operation6device12_GLOBAL__N_137kernel_grouped_conv_fwd_dl_multiple_dINS_32GridwiseGemmDlMultipleD_km_kn_mnILi256EaiNS_5TupleIJaEEEaNS0_12element_wise11PassThroughES8_NS7_7AddReluELNS_25InMemoryDataOperationEnumE0ENS_16TensorDescriptorINS5_IJNS_5EmbedINS5_IJiiiiiEEESD_Lb0EEENS_11PassThroughIiEENS_3PadIiiiLb0EEESI_SI_SG_SG_NSC_INS5_IJiiEEESJ_Lb0EEESK_SK_SG_NS_23Merge_v2_magic_divisionINS5_IJiiiiEEEEESN_NS_8RightPadIiiLb0EEESP_NS_7UnMergeISJ_Lb0EEESG_EEENS5_IJNS_8SequenceIJLi0EEEENST_IJLi1EEEENST_IJLi2EEEENST_IJLi3EEEENST_IJLi4EEEENST_IJLi5EEEENST_IJLi6EEEENST_IJLi7EEEENST_IJLi8EEEENST_IJLi9EEEENST_IJLi10EEEENST_IJLi11ELi13ELi15ELi17EEEENST_IJLi12ELi14ELi16ELi18EEEENST_IJLi19EEEENST_IJLi20EEEENST_IJLi22EEEENST_IJLi21EEEEEEENS5_IJNST_IJLi1ELi2ELi3ELi4ELi5EEEES10_S11_S12_S13_S14_NST_IJLi11EEEENST_IJLi12ELi13EEEENST_IJLi14ELi15EEEENST_IJLi16ELi17EEEENST_IJLi18EEEES17_S18_S1A_S19_NST_IJLi23ELi24EEEENST_IJLi25EEEEEEENST_IJLi23ELi25ELi24EEEElEENSB_INS5_IJSR_SP_SP_SR_SG_EEENS5_IJSU_SV_SW_SY_SX_EEENS5_IJNST_IJLi1ELi2EEEESX_SY_NST_IJLi5ELi6EEEES11_EEENST_IJLi5ELi7ELi6EEEElEENSB_INS5_IJSK_SP_SP_EEENS5_IJSU_SV_SW_EEENS5_IJS1P_SX_SY_EEENST_IJLi3ELi4EEEElEELi128ELi128ELi16ELi4ELi4ELi4ELi1ENST_IJLi8ELi2EEEES1Z_NST_IJLi8ELi1ELi1ELi4EEEENST_IJLi2ELi1ELi128ELi1EEEENST_IJLi1ELi2ELi0ELi3EEEES22_NST_IJLi4ELi1ELi1ELi4EEEES22_NST_IJLi1ELi1ELi1ELi4EEEES20_S21_S22_S22_S23_S22_S24_NST_IJLi0ELi1ELi2ELi3ELi4ELi5EEEELi5ELi4EEEaNS5_IJPKaEEEaS8_S8_S9_NSB_INS5_IJSE_SG_SI_SI_SI_SG_SG_SK_SK_SK_SG_SN_SN_SP_SP_SR_SG_SG_NSQ_INS5_IJiNS_17integral_constantIiLi128EEEEEELb0EEENSF_INS2A_IiLi4EEEEEEEENS5_IJSU_SV_SW_SX_SY_SZ_S10_S11_S12_S13_S14_S15_S16_S17_S18_S19_S1A_NST_IJLi23EEEES1J_NST_IJLi24EEEEEEENS5_IJS1C_S10_S11_S12_S13_S14_S1D_S1E_S1F_S1G_S1H_S17_S18_S1A_S19_S1I_S1J_NST_IJLi26EEEENST_IJLi27ELi28EEEENST_IJLi29EEEEEEENST_IJLi26ELi27ELi28ELi29EEEElEENSB_INS5_IJSR_SP_SP_SR_SG_SG_S2D_S2F_EEENS5_IJSU_SV_SW_SY_SX_SZ_S11_S10_EEENS5_IJS1P_SX_SY_S1Q_S11_S12_NST_IJLi9ELi10EEEES1D_EEENST_IJLi8ELi9ELi10ELi11EEEElEENS5_IJNSB_INS5_IJSK_SP_SP_NSQ_INS5_IJiNS2A_IiLi2EEENS2A_IiLi64EEEEEELb0EEES2Z_EEENS5_IJSU_SV_SW_SX_SY_EEENS5_IJS1P_SX_SY_NST_IJLi5ELi6ELi7EEEENST_IJLi8ELi9ELi10EEEEEEENST_IJLi5ELi6ELi7ELi8ELi9ELi10EEEElEEEEES36_NS_31BlockToCTileMap_M00_N00_M01_N01ILi128ELi128ES1Y_Lb0EEENS1_30ComputePtrOffsetOfStridedBatchILi1ELi1ELi1EvEELb1ELb0EEEvPKT0_S3E_T1_PT2_T3_T4_T5_iT6_T7_T8_T9_T10_T11_ ; -- Begin function _ZN2ck16tensor_operation6device12_GLOBAL__N_137kernel_grouped_conv_fwd_dl_multiple_dINS_32GridwiseGemmDlMultipleD_km_kn_mnILi256EaiNS_5TupleIJaEEEaNS0_12element_wise11PassThroughES8_NS7_7AddReluELNS_25InMemoryDataOperationEnumE0ENS_16TensorDescriptorINS5_IJNS_5EmbedINS5_IJiiiiiEEESD_Lb0EEENS_11PassThroughIiEENS_3PadIiiiLb0EEESI_SI_SG_SG_NSC_INS5_IJiiEEESJ_Lb0EEESK_SK_SG_NS_23Merge_v2_magic_divisionINS5_IJiiiiEEEEESN_NS_8RightPadIiiLb0EEESP_NS_7UnMergeISJ_Lb0EEESG_EEENS5_IJNS_8SequenceIJLi0EEEENST_IJLi1EEEENST_IJLi2EEEENST_IJLi3EEEENST_IJLi4EEEENST_IJLi5EEEENST_IJLi6EEEENST_IJLi7EEEENST_IJLi8EEEENST_IJLi9EEEENST_IJLi10EEEENST_IJLi11ELi13ELi15ELi17EEEENST_IJLi12ELi14ELi16ELi18EEEENST_IJLi19EEEENST_IJLi20EEEENST_IJLi22EEEENST_IJLi21EEEEEEENS5_IJNST_IJLi1ELi2ELi3ELi4ELi5EEEES10_S11_S12_S13_S14_NST_IJLi11EEEENST_IJLi12ELi13EEEENST_IJLi14ELi15EEEENST_IJLi16ELi17EEEENST_IJLi18EEEES17_S18_S1A_S19_NST_IJLi23ELi24EEEENST_IJLi25EEEEEEENST_IJLi23ELi25ELi24EEEElEENSB_INS5_IJSR_SP_SP_SR_SG_EEENS5_IJSU_SV_SW_SY_SX_EEENS5_IJNST_IJLi1ELi2EEEESX_SY_NST_IJLi5ELi6EEEES11_EEENST_IJLi5ELi7ELi6EEEElEENSB_INS5_IJSK_SP_SP_EEENS5_IJSU_SV_SW_EEENS5_IJS1P_SX_SY_EEENST_IJLi3ELi4EEEElEELi128ELi128ELi16ELi4ELi4ELi4ELi1ENST_IJLi8ELi2EEEES1Z_NST_IJLi8ELi1ELi1ELi4EEEENST_IJLi2ELi1ELi128ELi1EEEENST_IJLi1ELi2ELi0ELi3EEEES22_NST_IJLi4ELi1ELi1ELi4EEEES22_NST_IJLi1ELi1ELi1ELi4EEEES20_S21_S22_S22_S23_S22_S24_NST_IJLi0ELi1ELi2ELi3ELi4ELi5EEEELi5ELi4EEEaNS5_IJPKaEEEaS8_S8_S9_NSB_INS5_IJSE_SG_SI_SI_SI_SG_SG_SK_SK_SK_SG_SN_SN_SP_SP_SR_SG_SG_NSQ_INS5_IJiNS_17integral_constantIiLi128EEEEEELb0EEENSF_INS2A_IiLi4EEEEEEEENS5_IJSU_SV_SW_SX_SY_SZ_S10_S11_S12_S13_S14_S15_S16_S17_S18_S19_S1A_NST_IJLi23EEEES1J_NST_IJLi24EEEEEEENS5_IJS1C_S10_S11_S12_S13_S14_S1D_S1E_S1F_S1G_S1H_S17_S18_S1A_S19_S1I_S1J_NST_IJLi26EEEENST_IJLi27ELi28EEEENST_IJLi29EEEEEEENST_IJLi26ELi27ELi28ELi29EEEElEENSB_INS5_IJSR_SP_SP_SR_SG_SG_S2D_S2F_EEENS5_IJSU_SV_SW_SY_SX_SZ_S11_S10_EEENS5_IJS1P_SX_SY_S1Q_S11_S12_NST_IJLi9ELi10EEEES1D_EEENST_IJLi8ELi9ELi10ELi11EEEElEENS5_IJNSB_INS5_IJSK_SP_SP_NSQ_INS5_IJiNS2A_IiLi2EEENS2A_IiLi64EEEEEELb0EEES2Z_EEENS5_IJSU_SV_SW_SX_SY_EEENS5_IJS1P_SX_SY_NST_IJLi5ELi6ELi7EEEENST_IJLi8ELi9ELi10EEEEEEENST_IJLi5ELi6ELi7ELi8ELi9ELi10EEEElEEEEES36_NS_31BlockToCTileMap_M00_N00_M01_N01ILi128ELi128ES1Y_Lb0EEENS1_30ComputePtrOffsetOfStridedBatchILi1ELi1ELi1EvEELb1ELb0EEEvPKT0_S3E_T1_PT2_T3_T4_T5_iT6_T7_T8_T9_T10_T11_
	.p2align	8
	.type	_ZN2ck16tensor_operation6device12_GLOBAL__N_137kernel_grouped_conv_fwd_dl_multiple_dINS_32GridwiseGemmDlMultipleD_km_kn_mnILi256EaiNS_5TupleIJaEEEaNS0_12element_wise11PassThroughES8_NS7_7AddReluELNS_25InMemoryDataOperationEnumE0ENS_16TensorDescriptorINS5_IJNS_5EmbedINS5_IJiiiiiEEESD_Lb0EEENS_11PassThroughIiEENS_3PadIiiiLb0EEESI_SI_SG_SG_NSC_INS5_IJiiEEESJ_Lb0EEESK_SK_SG_NS_23Merge_v2_magic_divisionINS5_IJiiiiEEEEESN_NS_8RightPadIiiLb0EEESP_NS_7UnMergeISJ_Lb0EEESG_EEENS5_IJNS_8SequenceIJLi0EEEENST_IJLi1EEEENST_IJLi2EEEENST_IJLi3EEEENST_IJLi4EEEENST_IJLi5EEEENST_IJLi6EEEENST_IJLi7EEEENST_IJLi8EEEENST_IJLi9EEEENST_IJLi10EEEENST_IJLi11ELi13ELi15ELi17EEEENST_IJLi12ELi14ELi16ELi18EEEENST_IJLi19EEEENST_IJLi20EEEENST_IJLi22EEEENST_IJLi21EEEEEEENS5_IJNST_IJLi1ELi2ELi3ELi4ELi5EEEES10_S11_S12_S13_S14_NST_IJLi11EEEENST_IJLi12ELi13EEEENST_IJLi14ELi15EEEENST_IJLi16ELi17EEEENST_IJLi18EEEES17_S18_S1A_S19_NST_IJLi23ELi24EEEENST_IJLi25EEEEEEENST_IJLi23ELi25ELi24EEEElEENSB_INS5_IJSR_SP_SP_SR_SG_EEENS5_IJSU_SV_SW_SY_SX_EEENS5_IJNST_IJLi1ELi2EEEESX_SY_NST_IJLi5ELi6EEEES11_EEENST_IJLi5ELi7ELi6EEEElEENSB_INS5_IJSK_SP_SP_EEENS5_IJSU_SV_SW_EEENS5_IJS1P_SX_SY_EEENST_IJLi3ELi4EEEElEELi128ELi128ELi16ELi4ELi4ELi4ELi1ENST_IJLi8ELi2EEEES1Z_NST_IJLi8ELi1ELi1ELi4EEEENST_IJLi2ELi1ELi128ELi1EEEENST_IJLi1ELi2ELi0ELi3EEEES22_NST_IJLi4ELi1ELi1ELi4EEEES22_NST_IJLi1ELi1ELi1ELi4EEEES20_S21_S22_S22_S23_S22_S24_NST_IJLi0ELi1ELi2ELi3ELi4ELi5EEEELi5ELi4EEEaNS5_IJPKaEEEaS8_S8_S9_NSB_INS5_IJSE_SG_SI_SI_SI_SG_SG_SK_SK_SK_SG_SN_SN_SP_SP_SR_SG_SG_NSQ_INS5_IJiNS_17integral_constantIiLi128EEEEEELb0EEENSF_INS2A_IiLi4EEEEEEEENS5_IJSU_SV_SW_SX_SY_SZ_S10_S11_S12_S13_S14_S15_S16_S17_S18_S19_S1A_NST_IJLi23EEEES1J_NST_IJLi24EEEEEEENS5_IJS1C_S10_S11_S12_S13_S14_S1D_S1E_S1F_S1G_S1H_S17_S18_S1A_S19_S1I_S1J_NST_IJLi26EEEENST_IJLi27ELi28EEEENST_IJLi29EEEEEEENST_IJLi26ELi27ELi28ELi29EEEElEENSB_INS5_IJSR_SP_SP_SR_SG_SG_S2D_S2F_EEENS5_IJSU_SV_SW_SY_SX_SZ_S11_S10_EEENS5_IJS1P_SX_SY_S1Q_S11_S12_NST_IJLi9ELi10EEEES1D_EEENST_IJLi8ELi9ELi10ELi11EEEElEENS5_IJNSB_INS5_IJSK_SP_SP_NSQ_INS5_IJiNS2A_IiLi2EEENS2A_IiLi64EEEEEELb0EEES2Z_EEENS5_IJSU_SV_SW_SX_SY_EEENS5_IJS1P_SX_SY_NST_IJLi5ELi6ELi7EEEENST_IJLi8ELi9ELi10EEEEEEENST_IJLi5ELi6ELi7ELi8ELi9ELi10EEEElEEEEES36_NS_31BlockToCTileMap_M00_N00_M01_N01ILi128ELi128ES1Y_Lb0EEENS1_30ComputePtrOffsetOfStridedBatchILi1ELi1ELi1EvEELb1ELb0EEEvPKT0_S3E_T1_PT2_T3_T4_T5_iT6_T7_T8_T9_T10_T11_,@function
_ZN2ck16tensor_operation6device12_GLOBAL__N_137kernel_grouped_conv_fwd_dl_multiple_dINS_32GridwiseGemmDlMultipleD_km_kn_mnILi256EaiNS_5TupleIJaEEEaNS0_12element_wise11PassThroughES8_NS7_7AddReluELNS_25InMemoryDataOperationEnumE0ENS_16TensorDescriptorINS5_IJNS_5EmbedINS5_IJiiiiiEEESD_Lb0EEENS_11PassThroughIiEENS_3PadIiiiLb0EEESI_SI_SG_SG_NSC_INS5_IJiiEEESJ_Lb0EEESK_SK_SG_NS_23Merge_v2_magic_divisionINS5_IJiiiiEEEEESN_NS_8RightPadIiiLb0EEESP_NS_7UnMergeISJ_Lb0EEESG_EEENS5_IJNS_8SequenceIJLi0EEEENST_IJLi1EEEENST_IJLi2EEEENST_IJLi3EEEENST_IJLi4EEEENST_IJLi5EEEENST_IJLi6EEEENST_IJLi7EEEENST_IJLi8EEEENST_IJLi9EEEENST_IJLi10EEEENST_IJLi11ELi13ELi15ELi17EEEENST_IJLi12ELi14ELi16ELi18EEEENST_IJLi19EEEENST_IJLi20EEEENST_IJLi22EEEENST_IJLi21EEEEEEENS5_IJNST_IJLi1ELi2ELi3ELi4ELi5EEEES10_S11_S12_S13_S14_NST_IJLi11EEEENST_IJLi12ELi13EEEENST_IJLi14ELi15EEEENST_IJLi16ELi17EEEENST_IJLi18EEEES17_S18_S1A_S19_NST_IJLi23ELi24EEEENST_IJLi25EEEEEEENST_IJLi23ELi25ELi24EEEElEENSB_INS5_IJSR_SP_SP_SR_SG_EEENS5_IJSU_SV_SW_SY_SX_EEENS5_IJNST_IJLi1ELi2EEEESX_SY_NST_IJLi5ELi6EEEES11_EEENST_IJLi5ELi7ELi6EEEElEENSB_INS5_IJSK_SP_SP_EEENS5_IJSU_SV_SW_EEENS5_IJS1P_SX_SY_EEENST_IJLi3ELi4EEEElEELi128ELi128ELi16ELi4ELi4ELi4ELi1ENST_IJLi8ELi2EEEES1Z_NST_IJLi8ELi1ELi1ELi4EEEENST_IJLi2ELi1ELi128ELi1EEEENST_IJLi1ELi2ELi0ELi3EEEES22_NST_IJLi4ELi1ELi1ELi4EEEES22_NST_IJLi1ELi1ELi1ELi4EEEES20_S21_S22_S22_S23_S22_S24_NST_IJLi0ELi1ELi2ELi3ELi4ELi5EEEELi5ELi4EEEaNS5_IJPKaEEEaS8_S8_S9_NSB_INS5_IJSE_SG_SI_SI_SI_SG_SG_SK_SK_SK_SG_SN_SN_SP_SP_SR_SG_SG_NSQ_INS5_IJiNS_17integral_constantIiLi128EEEEEELb0EEENSF_INS2A_IiLi4EEEEEEEENS5_IJSU_SV_SW_SX_SY_SZ_S10_S11_S12_S13_S14_S15_S16_S17_S18_S19_S1A_NST_IJLi23EEEES1J_NST_IJLi24EEEEEEENS5_IJS1C_S10_S11_S12_S13_S14_S1D_S1E_S1F_S1G_S1H_S17_S18_S1A_S19_S1I_S1J_NST_IJLi26EEEENST_IJLi27ELi28EEEENST_IJLi29EEEEEEENST_IJLi26ELi27ELi28ELi29EEEElEENSB_INS5_IJSR_SP_SP_SR_SG_SG_S2D_S2F_EEENS5_IJSU_SV_SW_SY_SX_SZ_S11_S10_EEENS5_IJS1P_SX_SY_S1Q_S11_S12_NST_IJLi9ELi10EEEES1D_EEENST_IJLi8ELi9ELi10ELi11EEEElEENS5_IJNSB_INS5_IJSK_SP_SP_NSQ_INS5_IJiNS2A_IiLi2EEENS2A_IiLi64EEEEEELb0EEES2Z_EEENS5_IJSU_SV_SW_SX_SY_EEENS5_IJS1P_SX_SY_NST_IJLi5ELi6ELi7EEEENST_IJLi8ELi9ELi10EEEEEEENST_IJLi5ELi6ELi7ELi8ELi9ELi10EEEElEEEEES36_NS_31BlockToCTileMap_M00_N00_M01_N01ILi128ELi128ES1Y_Lb0EEENS1_30ComputePtrOffsetOfStridedBatchILi1ELi1ELi1EvEELb1ELb0EEEvPKT0_S3E_T1_PT2_T3_T4_T5_iT6_T7_T8_T9_T10_T11_: ; @_ZN2ck16tensor_operation6device12_GLOBAL__N_137kernel_grouped_conv_fwd_dl_multiple_dINS_32GridwiseGemmDlMultipleD_km_kn_mnILi256EaiNS_5TupleIJaEEEaNS0_12element_wise11PassThroughES8_NS7_7AddReluELNS_25InMemoryDataOperationEnumE0ENS_16TensorDescriptorINS5_IJNS_5EmbedINS5_IJiiiiiEEESD_Lb0EEENS_11PassThroughIiEENS_3PadIiiiLb0EEESI_SI_SG_SG_NSC_INS5_IJiiEEESJ_Lb0EEESK_SK_SG_NS_23Merge_v2_magic_divisionINS5_IJiiiiEEEEESN_NS_8RightPadIiiLb0EEESP_NS_7UnMergeISJ_Lb0EEESG_EEENS5_IJNS_8SequenceIJLi0EEEENST_IJLi1EEEENST_IJLi2EEEENST_IJLi3EEEENST_IJLi4EEEENST_IJLi5EEEENST_IJLi6EEEENST_IJLi7EEEENST_IJLi8EEEENST_IJLi9EEEENST_IJLi10EEEENST_IJLi11ELi13ELi15ELi17EEEENST_IJLi12ELi14ELi16ELi18EEEENST_IJLi19EEEENST_IJLi20EEEENST_IJLi22EEEENST_IJLi21EEEEEEENS5_IJNST_IJLi1ELi2ELi3ELi4ELi5EEEES10_S11_S12_S13_S14_NST_IJLi11EEEENST_IJLi12ELi13EEEENST_IJLi14ELi15EEEENST_IJLi16ELi17EEEENST_IJLi18EEEES17_S18_S1A_S19_NST_IJLi23ELi24EEEENST_IJLi25EEEEEEENST_IJLi23ELi25ELi24EEEElEENSB_INS5_IJSR_SP_SP_SR_SG_EEENS5_IJSU_SV_SW_SY_SX_EEENS5_IJNST_IJLi1ELi2EEEESX_SY_NST_IJLi5ELi6EEEES11_EEENST_IJLi5ELi7ELi6EEEElEENSB_INS5_IJSK_SP_SP_EEENS5_IJSU_SV_SW_EEENS5_IJS1P_SX_SY_EEENST_IJLi3ELi4EEEElEELi128ELi128ELi16ELi4ELi4ELi4ELi1ENST_IJLi8ELi2EEEES1Z_NST_IJLi8ELi1ELi1ELi4EEEENST_IJLi2ELi1ELi128ELi1EEEENST_IJLi1ELi2ELi0ELi3EEEES22_NST_IJLi4ELi1ELi1ELi4EEEES22_NST_IJLi1ELi1ELi1ELi4EEEES20_S21_S22_S22_S23_S22_S24_NST_IJLi0ELi1ELi2ELi3ELi4ELi5EEEELi5ELi4EEEaNS5_IJPKaEEEaS8_S8_S9_NSB_INS5_IJSE_SG_SI_SI_SI_SG_SG_SK_SK_SK_SG_SN_SN_SP_SP_SR_SG_SG_NSQ_INS5_IJiNS_17integral_constantIiLi128EEEEEELb0EEENSF_INS2A_IiLi4EEEEEEEENS5_IJSU_SV_SW_SX_SY_SZ_S10_S11_S12_S13_S14_S15_S16_S17_S18_S19_S1A_NST_IJLi23EEEES1J_NST_IJLi24EEEEEEENS5_IJS1C_S10_S11_S12_S13_S14_S1D_S1E_S1F_S1G_S1H_S17_S18_S1A_S19_S1I_S1J_NST_IJLi26EEEENST_IJLi27ELi28EEEENST_IJLi29EEEEEEENST_IJLi26ELi27ELi28ELi29EEEElEENSB_INS5_IJSR_SP_SP_SR_SG_SG_S2D_S2F_EEENS5_IJSU_SV_SW_SY_SX_SZ_S11_S10_EEENS5_IJS1P_SX_SY_S1Q_S11_S12_NST_IJLi9ELi10EEEES1D_EEENST_IJLi8ELi9ELi10ELi11EEEElEENS5_IJNSB_INS5_IJSK_SP_SP_NSQ_INS5_IJiNS2A_IiLi2EEENS2A_IiLi64EEEEEELb0EEES2Z_EEENS5_IJSU_SV_SW_SX_SY_EEENS5_IJS1P_SX_SY_NST_IJLi5ELi6ELi7EEEENST_IJLi8ELi9ELi10EEEEEEENST_IJLi5ELi6ELi7ELi8ELi9ELi10EEEElEEEEES36_NS_31BlockToCTileMap_M00_N00_M01_N01ILi128ELi128ES1Y_Lb0EEENS1_30ComputePtrOffsetOfStridedBatchILi1ELi1ELi1EvEELb1ELb0EEEvPKT0_S3E_T1_PT2_T3_T4_T5_iT6_T7_T8_T9_T10_T11_
; %bb.0:
	s_clause 0x3
	s_load_b32 s2, s[0:1], 0x24
	s_load_b128 s[24:27], s[0:1], 0x3c
	s_load_b32 s92, s[0:1], 0x4c
	s_load_b32 s4, s[0:1], 0x300
	s_mov_b32 s28, 0
	s_clause 0x3
	s_load_b128 s[72:75], s[0:1], 0x0
	s_load_b64 s[84:85], s[0:1], 0x18
	s_load_b256 s[36:43], s[0:1], 0x54
	s_load_b128 s[80:83], s[0:1], 0x2c0
	s_mov_b64 s[56:57], src_shared_base
	v_lshrrev_b32_e32 v22, 1, v0
	v_lshrrev_b32_e32 v6, 5, v0
	s_movk_i32 s32, 0x1e0
	v_mov_b32_e32 v34, 0
	v_lshlrev_b32_e32 v2, 3, v0
	v_lshlrev_b32_e32 v8, 1, v0
	;; [unrolled: 1-line block ×4, first 2 shown]
	s_delay_alu instid0(VALU_DEP_4)
	v_dual_mov_b32 v36, v34 :: v_dual_and_b32 v23, 8, v2
	v_mov_b32_e32 v5, v34
	v_mov_b32_e32 v7, v34
	s_waitcnt lgkmcnt(0)
	s_abs_i32 s3, s2
	v_mov_b32_e32 v9, v34
	v_cvt_f32_u32_e32 v1, s3
	s_sub_i32 s6, 0, s3
	s_abs_i32 s7, s4
	s_xor_b32 s2, s4, s2
	v_mov_b32_e32 v16, v34
	v_rcp_iflag_f32_e32 v1, v1
	s_ashr_i32 s2, s2, 31
	v_mov_b32_e32 v11, v34
	v_mov_b32_e32 v4, v34
	;; [unrolled: 1-line block ×3, first 2 shown]
	s_waitcnt_depctr 0xfff
	v_mul_f32_e32 v1, 0x4f7ffffe, v1
	s_delay_alu instid0(VALU_DEP_1) | instskip(NEXT) | instid1(VALU_DEP_1)
	v_cvt_u32_f32_e32 v1, v1
	v_readfirstlane_b32 s5, v1
	s_delay_alu instid0(VALU_DEP_1) | instskip(NEXT) | instid1(SALU_CYCLE_1)
	s_mul_i32 s6, s6, s5
	s_mul_hi_u32 s6, s5, s6
	s_delay_alu instid0(SALU_CYCLE_1) | instskip(NEXT) | instid1(SALU_CYCLE_1)
	s_add_i32 s5, s5, s6
	s_mul_hi_u32 s5, s7, s5
	s_delay_alu instid0(SALU_CYCLE_1) | instskip(SKIP_2) | instid1(SALU_CYCLE_1)
	s_mul_i32 s4, s5, s3
	s_add_i32 s6, s5, 1
	s_sub_i32 s4, s7, s4
	s_sub_i32 s7, s4, s3
	s_cmp_ge_u32 s4, s3
	s_cselect_b32 s5, s6, s5
	s_cselect_b32 s4, s7, s4
	s_add_i32 s6, s5, 1
	s_cmp_ge_u32 s4, s3
	s_cselect_b32 s3, s6, s5
	s_abs_i32 s29, s15
	s_xor_b32 s3, s3, s2
	s_clause 0x5
	s_load_b64 s[86:87], s[0:1], 0x88
	s_load_b64 s[88:89], s[0:1], 0x98
	s_load_b64 s[90:91], s[0:1], 0xa8
	s_load_b256 s[4:11], s[0:1], 0xb8
	s_load_b128 s[64:67], s[0:1], 0xd8
	s_load_b256 s[44:51], s[0:1], 0xec
	s_sub_i32 s3, s3, s2
	s_load_b128 s[52:55], s[0:1], 0x10c
	s_waitcnt lgkmcnt(0)
	s_clause 0x2
	s_load_b32 s7, s[0:1], 0x120
	s_load_b32 s93, s[0:1], 0x12c
	;; [unrolled: 1-line block ×3, first 2 shown]
	s_abs_i32 s2, s3
	s_xor_b32 s3, s15, s3
	v_cvt_f32_u32_e32 v1, s2
	s_sub_i32 s16, 0, s2
	s_ashr_i32 s3, s3, 31
	s_clause 0x8
	s_load_b32 s58, s[0:1], 0x160
	s_load_b32 s14, s[0:1], 0x170
	;; [unrolled: 1-line block ×6, first 2 shown]
	s_load_b64 s[34:35], s[0:1], 0x1d0
	s_load_b32 s33, s[0:1], 0x27c
	s_load_b32 s59, s[0:1], 0x28c
	v_rcp_iflag_f32_e32 v1, v1
	s_clause 0x1
	s_load_b128 s[68:71], s[0:1], 0x298
	s_load_b128 s[76:79], s[0:1], 0x2ac
	s_waitcnt_depctr 0xfff
	v_mul_f32_e32 v1, 0x4f7ffffe, v1
	s_waitcnt lgkmcnt(0)
	v_mul_lo_u32 v24, s11, v23
	s_delay_alu instid0(VALU_DEP_2) | instskip(SKIP_1) | instid1(VALU_DEP_2)
	v_cvt_u32_f32_e32 v1, v1
	v_mul_lo_u32 v26, s12, v23
	v_readfirstlane_b32 s17, v1
	v_mov_b32_e32 v1, v34
	v_mul_hi_u32 v2, v24, s50
	v_mov_b32_e32 v3, v34
	v_cmp_gt_i32_e32 vcc_lo, s93, v24
	s_mul_i32 s16, s16, s17
	s_delay_alu instid0(SALU_CYCLE_1) | instskip(NEXT) | instid1(SALU_CYCLE_1)
	s_mul_hi_u32 s16, s17, s16
	s_add_i32 s30, s17, s16
	s_delay_alu instid0(VALU_DEP_3) | instskip(SKIP_3) | instid1(SALU_CYCLE_1)
	v_add_nc_u32_e32 v2, v24, v2
	s_mul_hi_u32 s30, s29, s30
	s_load_b256 s[16:23], s[0:1], 0x2d8
	s_mul_i32 s31, s30, s2
	s_sub_i32 s29, s29, s31
	s_add_i32 s31, s30, 1
	s_sub_i32 s47, s29, s2
	s_cmp_ge_u32 s29, s2
	v_lshrrev_b32_e32 v18, s54, v2
	s_cselect_b32 s30, s31, s30
	s_cselect_b32 s29, s47, s29
	s_add_i32 s31, s30, 1
	s_cmp_ge_u32 s29, s2
	s_mov_b32 s29, s28
	s_cselect_b32 s2, s31, s30
	s_mov_b32 s31, s28
	s_xor_b32 s2, s2, s3
	s_mov_b32 s30, s28
	s_sub_i32 s51, s2, s3
	v_mov_b32_e32 v17, s57
	s_ashr_i32 s55, s51, 31
	s_waitcnt lgkmcnt(0)
	s_mul_hi_u32 s2, s16, s51
	s_mul_i32 s3, s17, s51
	s_mul_i32 s17, s16, s51
	;; [unrolled: 1-line block ×3, first 2 shown]
	s_mul_hi_u32 s47, s18, s51
	s_mul_hi_u32 s56, s22, s51
	s_mul_i32 s57, s18, s55
	s_add_i32 s2, s2, s16
	s_mul_i32 s16, s22, s55
	v_mov_b32_e32 v41, s31
	s_add_i32 s47, s47, s57
	s_mul_i32 s19, s19, s51
	s_add_i32 s16, s56, s16
	s_mul_i32 s23, s23, s51
	s_add_i32 s2, s2, s3
	s_add_i32 s47, s47, s19
	;; [unrolled: 1-line block ×3, first 2 shown]
	s_add_u32 s56, s72, s17
	s_addc_u32 s57, s73, s2
	s_mul_i32 s2, s18, s51
	v_mov_b32_e32 v39, s29
	s_add_u32 s60, s74, s2
	s_mul_hi_u32 s2, s79, s15
	s_addc_u32 s61, s75, s47
	s_add_i32 s2, s15, s2
	v_and_b32_e32 v2, 0x1f8, v8
	s_lshr_b32 s2, s2, s83
	v_and_b32_e32 v8, 0x1fc, v8
	s_mul_hi_u32 s3, s2, s78
	v_mov_b32_e32 v40, s30
	s_add_i32 s3, s2, s3
	v_mul_hi_u32 v14, v18, s49
	s_lshr_b32 s3, s3, s82
	v_sub_nc_u32_e32 v8, v8, v2
	s_mul_hi_u32 s17, s3, s77
	s_mul_i32 s19, s3, s70
	s_add_i32 s17, s3, s17
	s_sub_i32 s47, s2, s19
	s_lshr_b32 s17, s17, s81
	v_sub_nc_u32_e32 v2, v2, v10
	s_mul_hi_u32 s18, s17, s76
	v_add_nc_u32_e32 v10, v18, v14
	s_add_i32 s18, s17, s18
	v_mov_b32_e32 v38, s28
	s_lshr_b32 s18, s18, s80
	v_lshl_add_u32 v35, v6, 3, v8
	s_mul_i32 s18, s18, s68
	v_lshrrev_b32_e32 v19, s53, v10
	s_sub_i32 s18, s17, s18
	s_clause 0x5
	scratch_store_b128 off, v[38:41], off offset:144
	scratch_store_b128 off, v[38:41], off offset:160
	;; [unrolled: 1-line block ×6, first 2 shown]
	s_mul_i32 s18, s18, s33
	s_clause 0x1
	scratch_store_b128 off, v[38:41], off offset:240
	scratch_store_b128 off, v[38:41], off offset:256
	s_add_i32 s47, s47, s18
	s_clause 0x1
	scratch_store_b128 off, v[38:41], off offset:272
	scratch_store_b128 off, v[38:41], off offset:288
	v_lshl_or_b32 v25, s47, 7, v22
	s_clause 0x6
	scratch_store_b128 off, v[38:41], off offset:304
	scratch_store_b128 off, v[38:41], off offset:320
	;; [unrolled: 1-line block ×6, first 2 shown]
	scratch_store_b64 off, v[16:17], off offset:400
	v_mul_hi_u32 v14, v25, s10
	v_mov_b32_e32 v16, 0x4000
	scratch_store_b8 off, v34, off offset:409
	v_and_or_b32 v37, v0, 4, v2
	v_mul_hi_u32 v20, v19, s48
	v_dual_mov_b32 v15, v34 :: v_dual_lshlrev_b32 v0, 2, v35
	v_mov_b32_e32 v2, v35
	v_add_nc_u32_e32 v14, v25, v14
	s_clause 0x2
	scratch_store_b64 off, v[16:17], off offset:416
	scratch_store_b128 off, v[34:37], off offset:64
	scratch_store_b128 off, v[0:3], off offset:80
	v_mov_b32_e32 v6, v35
	v_lshrrev_b32_e32 v21, s66, v14
	v_add_nc_u32_e32 v0, v19, v20
	v_lshlrev_b32_e32 v8, 2, v37
	v_mov_b32_e32 v10, v37
	v_mul_lo_u32 v3, v18, s46
	v_mul_hi_u32 v1, v21, s9
	s_lshl_b32 s9, s11, 2
	v_lshrrev_b32_e32 v27, s52, v0
	v_add_nc_u32_e32 v36, s9, v24
	s_clause 0x1
	scratch_store_b128 off, v[4:7], off offset:96
	scratch_store_b128 off, v[8:11], off offset:112
	v_mul_lo_u32 v2, v19, s45
	v_mul_lo_u32 v9, v21, s6
	v_sub_nc_u32_e32 v7, v24, v3
	v_add_nc_u32_e32 v0, v21, v1
	v_mul_hi_u32 v4, v36, s50
	v_mov_b32_e32 v12, v34
	v_mov_b32_e32 v14, v37
	v_mul_lo_u32 v1, v27, s86
	v_lshrrev_b32_e32 v6, s65, v0
	v_sub_nc_u32_e32 v5, v18, v2
	v_mul_lo_u32 v2, v27, s44
	v_sub_nc_u32_e32 v9, v25, v9
	v_add_nc_u32_e32 v3, v36, v4
	v_mul_hi_u32 v4, v6, s8
	v_mul_lo_u32 v10, v6, s5
	v_mul_lo_u32 v0, v5, s90
	v_mov_b32_e32 v16, 0x2000
	v_lshrrev_b32_e32 v3, s54, v3
	v_sub_nc_u32_e32 v8, v19, v2
	scratch_store_b128 off, v[12:15], off offset:128
	s_mul_i32 s2, s2, s71
	scratch_store_b64 off, v[16:17], off offset:432
	v_add_nc_u32_e32 v2, v6, v4
	v_mul_hi_u32 v4, v3, s49
	v_sub_nc_u32_e32 v10, v21, v10
	v_mad_u64_u32 v[18:19], null, v9, s91, v[0:1]
	s_delay_alu instid0(VALU_DEP_4)
	v_lshrrev_b32_e32 v11, s64, v2
	v_mul_lo_u32 v2, v8, s88
	s_mul_i32 s17, s17, s69
	s_sub_i32 s68, s15, s2
	v_add_nc_u32_e32 v4, v3, v4
	v_mul_lo_u32 v12, v11, s4
	s_sub_i32 s2, s3, s17
	v_subrev_nc_u32_e32 v9, s43, v18
	s_mul_i32 s2, s2, s59
	v_lshrrev_b32_e32 v4, s53, v4
	v_mad_u64_u32 v[19:20], null, v10, s89, v[2:3]
	s_add_i32 s68, s68, s2
	s_delay_alu instid0(VALU_DEP_4) | instskip(NEXT) | instid1(VALU_DEP_3)
	v_sub_nc_u32_e32 v0, v6, v12
	v_mul_hi_u32 v2, v4, s48
	v_lshl_or_b32 v28, s68, 7, v22
	v_mul_lo_u32 v6, v7, s92
	v_mul_lo_u32 v9, v9, s27
	v_mov_b32_e32 v16, 0x6000
	s_clause 0x1
	scratch_store_b8 off, v34, off offset:425
	scratch_store_b8 off, v34, off offset:441
	v_mul_lo_u32 v44, v28, s14
	s_clause 0x1
	scratch_store_b64 off, v[16:17], off offset:448
	scratch_store_b8 off, v34, off offset:457
	v_mad_u64_u32 v[20:21], null, v0, s87, v[1:2]
	v_add_nc_u32_e32 v2, v4, v2
	v_mul_lo_u32 v1, v4, s45
	v_subrev_nc_u32_e32 v0, s40, v19
	v_add_nc_u32_e32 v10, v44, v26
	s_lshl_b32 s4, s12, 2
	v_lshrrev_b32_e32 v57, s52, v2
	v_subrev_nc_u32_e32 v13, s37, v20
	v_mul_lo_u32 v12, v0, s26
	v_mul_lo_u32 v0, v3, s46
	v_sub_nc_u32_e32 v58, v3, v1
	v_mul_lo_u32 v14, v57, s44
	v_sub_nc_u32_e32 v15, v57, v27
	s_mov_b32 s59, 0x31004000
	v_mul_lo_u32 v11, v11, s24
	v_sub_nc_u32_e32 v5, v58, v5
	v_add3_u32 v9, v9, v6, v12
	v_sub_nc_u32_e32 v64, v36, v0
	v_mul_lo_u32 v17, v15, s86
	v_sub_nc_u32_e32 v59, v4, v14
	v_mul_lo_u32 v16, v5, s90
	v_add_nc_u32_e32 v4, s4, v10
	v_sub_nc_u32_e32 v12, v64, v7
	s_mov_b32 s63, s59
	v_sub_nc_u32_e32 v8, v59, v8
	s_clause 0x1
	buffer_load_b128 v[0:3], v10, s[60:63], 0 offen
	buffer_load_b128 v[4:7], v4, s[60:63], 0 offen
	v_mul_lo_u32 v10, v13, s25
	v_mul_lo_u32 v13, v16, s27
	;; [unrolled: 1-line block ×5, first 2 shown]
	v_add_nc_u32_e32 v62, v18, v16
	s_mul_i32 s5, s11, 12
	s_sub_i32 s39, s39, s41
	v_add3_u32 v14, v9, v11, v10
	v_add_nc_u32_e32 v16, s4, v26
	v_mul_lo_u32 v15, v21, s26
	s_add_i32 s41, s9, s5
	v_add3_u32 v12, v13, v12, v8
	buffer_load_b128 v[8:11], v14, s[56:59], 0 offen
	v_cmp_le_i32_e64 s4, s43, v62
	v_add_nc_u32_e32 v61, v19, v21
	s_sub_i32 s83, s36, s38
	v_add_nc_u32_e32 v63, v20, v17
	v_add3_u32 v60, v12, v15, v14
	v_or_b32_e32 v17, 36, v23
	s_mov_b64 s[66:67], src_private_base
	s_mov_b32 s70, 64
	s_movk_i32 s66, 0x90
	buffer_load_b128 v[12:15], v60, s[56:59], 0 offen
	s_clause 0x4
	s_load_b32 s2, s[0:1], 0x74
	s_load_b32 s6, s[0:1], 0x148
	s_load_b64 s[64:65], s[0:1], 0x220
	s_load_b32 s24, s[0:1], 0x22c
	s_load_b32 s29, s[0:1], 0x238
	v_mul_lo_u32 v51, s11, v17
	v_mul_lo_u32 v45, s12, v17
	s_movk_i32 s71, 0x190
	s_movk_i32 s69, 0x1a0
	;; [unrolled: 1-line block ×4, first 2 shown]
	s_mov_b32 s76, 0
	s_mov_b32 s77, 32
	v_mov_b32_e32 v53, v51
	s_mov_b32 s73, s67
	s_mov_b32 s74, s67
	;; [unrolled: 1-line block ×8, first 2 shown]
	s_waitcnt lgkmcnt(0)
	s_sub_i32 s42, s42, s2
	v_cmp_le_i32_e64 s2, s43, v18
	v_cmp_gt_i32_e64 s3, s42, v18
	v_cmp_gt_i32_e64 s5, s42, v62
	v_lshlrev_b32_e32 v18, 2, v22
	s_mov_b32 s87, s28
	s_mul_i32 s38, s22, s51
	s_and_b32 s3, s2, s3
	v_cmp_gt_i32_e64 s2, s93, v36
	s_and_b32 s4, s4, s5
	s_and_b32 s8, vcc_lo, s3
	v_cmp_le_i32_e32 vcc_lo, s40, v19
	v_cmp_gt_i32_e64 s3, s39, v19
	s_and_b32 s5, s2, s4
	v_cmp_le_i32_e64 s2, s40, v61
	v_cmp_gt_i32_e64 s4, s39, v61
	v_lshl_or_b32 v34, v23, 9, v18
	s_and_b32 s3, vcc_lo, s3
	v_cmp_le_i32_e32 vcc_lo, s37, v20
	s_and_b32 s3, s8, s3
	s_and_b32 s4, s2, s4
	v_cmp_gt_i32_e64 s2, s83, v20
	s_and_b32 s4, s5, s4
	v_or_b32_e32 v18, 32, v23
	v_or_b32_e32 v19, 20, v23
	;; [unrolled: 1-line block ×3, first 2 shown]
	s_and_b32 s2, vcc_lo, s2
	v_cmp_le_i32_e32 vcc_lo, s37, v63
	s_and_b32 s5, s3, s2
	v_cmp_gt_i32_e64 s2, s83, v63
	v_cmp_gt_i32_e64 s3, s7, v25
	v_mul_lo_u32 v49, s11, v20
	v_mul_lo_u32 v50, s11, v19
	;; [unrolled: 1-line block ×3, first 2 shown]
	s_and_b32 s2, vcc_lo, s2
	v_cmp_gt_i32_e32 vcc_lo, s94, v26
	s_and_b32 s4, s4, s2
	v_cmp_gt_i32_e64 s2, s13, v28
	v_mul_lo_u32 v46, s12, v18
	v_mul_lo_u32 v47, s12, v19
	;; [unrolled: 1-line block ×3, first 2 shown]
	v_mov_b32_e32 v54, v52
	s_and_b32 vcc_lo, vcc_lo, s2
	v_dual_mov_b32 v55, v50 :: v_dual_mov_b32 v56, v49
	s_sub_i32 s89, s6, 32
	s_lshl_b32 s91, s12, 5
	s_lshl_b32 s95, s11, 5
	s_sub_i32 s96, 0, s46
	s_waitcnt vmcnt(3)
	v_dual_cndmask_b32 v3, 0, v3 :: v_dual_cndmask_b32 v2, 0, v2
	v_dual_cndmask_b32 v1, 0, v1 :: v_dual_cndmask_b32 v0, 0, v0
	v_cmp_gt_i32_e32 vcc_lo, s94, v16
	s_delay_alu instid0(VALU_DEP_3) | instskip(NEXT) | instid1(VALU_DEP_3)
	v_perm_b32 v2, v2, v2, 0x3020104
	v_perm_b32 v0, v0, v0, 0x3020104
	s_and_b32 vcc_lo, vcc_lo, s2
	ds_store_2addr_stride64_b32 v34, v0, v1 offset0:64 offset1:66
	ds_store_2addr_stride64_b32 v34, v2, v3 offset0:68 offset1:70
	s_waitcnt vmcnt(2)
	v_dual_cndmask_b32 v4, 0, v4 :: v_dual_cndmask_b32 v7, 0, v7
	v_dual_cndmask_b32 v6, 0, v6 :: v_dual_cndmask_b32 v5, 0, v5
	s_and_b32 vcc_lo, s3, s5
	s_delay_alu instid0(VALU_DEP_2)
	v_perm_b32 v4, v4, v4, 0x3020104
	s_waitcnt vmcnt(1)
	v_dual_cndmask_b32 v11, 0, v11 :: v_dual_cndmask_b32 v10, 0, v10
	v_dual_cndmask_b32 v9, 0, v9 :: v_dual_cndmask_b32 v8, 0, v8
	s_and_b32 vcc_lo, s3, s4
	v_perm_b32 v0, v6, v6, 0x3020104
	s_waitcnt vmcnt(0)
	v_dual_cndmask_b32 v2, 0, v12 :: v_dual_cndmask_b32 v3, 0, v14
	ds_store_2addr_stride64_b32 v34, v4, v5 offset0:72 offset1:74
	v_perm_b32 v5, v8, v8, 0x3020104
	v_perm_b32 v6, v10, v10, 0x3020104
	v_cndmask_b32_e32 v4, 0, v13, vcc_lo
	v_perm_b32 v2, v2, v2, 0x3020104
	v_cndmask_b32_e32 v1, 0, v15, vcc_lo
	v_perm_b32 v3, v3, v3, 0x3020104
	ds_store_2addr_stride64_b32 v34, v0, v7 offset0:76 offset1:78
	ds_store_2addr_stride64_b32 v34, v5, v9 offset1:2
	ds_store_2addr_stride64_b32 v34, v6, v11 offset0:4 offset1:6
	ds_store_2addr_stride64_b32 v34, v2, v4 offset0:8 offset1:10
	;; [unrolled: 1-line block ×3, first 2 shown]
	s_clause 0x3
	s_load_b32 s33, s[0:1], 0x1dc
	s_load_b32 s36, s[0:1], 0x1e8
	s_load_b64 s[18:19], s[0:1], 0x210
	s_load_b64 s[14:15], s[0:1], 0x260
.LBB11_1:                               ; =>This Inner Loop Header: Depth=1
	v_mul_hi_u32 v0, s50, v56
	v_add_nc_u32_e32 v33, s28, v49
	v_mul_hi_u32 v1, s50, v55
	v_add_nc_u32_e32 v32, s28, v50
	s_getpc_b64 s[22:23]
	s_add_u32 s22, s22, _ZNK2ck6detail15static_for_implINS_8SequenceIJLi1ELi2ELi3ELi4ELi5ELi6ELi7ELi8ELi9ELi10ELi11ELi12ELi13ELi14ELi15EEEEEclIZNKS_80BlockwiseGemmDl_A_BK0_BM_BK1_B_BK0_BN_BK1_C_BM0_BM1_BN0_BN1_pipeline_BM0_2_BN0_2ILi256EaaiKNS_16TensorDescriptorINS_5TupleIJNS_5EmbedINS8_IJNS_17integral_constantIiLi16EEENSA_IiLi128EEENSA_IiLi4EEEEEENS8_IJNSA_IiLi512EEESD_NSA_IiLi1EEEEEELb0EEEEEENS8_IJNS2_IJLi0EEEEEEENS8_IJNS2_IJLi1ELi2ELi3EEEEEEESM_NSA_IlLl8192EEEEESQ_Li4ELi4ELi1ENS2_IJLi8ELi2EEEESR_Li4ELi4ELb0EE3RunINS7_INS8_IJNS_7UnMergeINS8_IJNSA_IiLi2EEESD_SV_SD_EEELb0EEEEEESL_NS8_IJNS2_IJLi1ELi2ELi3ELi4EEEEEEESZ_NSA_IlLl64EEEEENS_13DynamicBufferILNS_16AddressSpaceEnumE2EaSO_Lb1ELNS_22AmdBufferCoherenceEnumE0EiEES16_NS_12StaticBufferILS14_4EiLi64ELb1EEEEEvRKT_RKT0_RKT1_RT2_EUlS19_E_EEvS19_@rel32@lo+4
	s_addc_u32 s23, s23, _ZNK2ck6detail15static_for_implINS_8SequenceIJLi1ELi2ELi3ELi4ELi5ELi6ELi7ELi8ELi9ELi10ELi11ELi12ELi13ELi14ELi15EEEEEclIZNKS_80BlockwiseGemmDl_A_BK0_BM_BK1_B_BK0_BN_BK1_C_BM0_BM1_BN0_BN1_pipeline_BM0_2_BN0_2ILi256EaaiKNS_16TensorDescriptorINS_5TupleIJNS_5EmbedINS8_IJNS_17integral_constantIiLi16EEENSA_IiLi128EEENSA_IiLi4EEEEEENS8_IJNSA_IiLi512EEESD_NSA_IiLi1EEEEEELb0EEEEEENS8_IJNS2_IJLi0EEEEEEENS8_IJNS2_IJLi1ELi2ELi3EEEEEEESM_NSA_IlLl8192EEEEESQ_Li4ELi4ELi1ENS2_IJLi8ELi2EEEESR_Li4ELi4ELb0EE3RunINS7_INS8_IJNS_7UnMergeINS8_IJNSA_IiLi2EEESD_SV_SD_EEELb0EEEEEESL_NS8_IJNS2_IJLi1ELi2ELi3ELi4EEEEEEESZ_NSA_IlLl64EEEEENS_13DynamicBufferILNS_16AddressSpaceEnumE2EaSO_Lb1ELNS_22AmdBufferCoherenceEnumE0EiEES16_NS_12StaticBufferILS14_4EiLi64ELb1EEEEEvRKT_RKT0_RKT1_RT2_EUlS19_E_EEvS19_@rel32@hi+12
	s_delay_alu instid0(VALU_DEP_1) | instskip(SKIP_1) | instid1(VALU_DEP_4)
	v_cmp_gt_i32_e64 s4, s93, v32
	v_add_nc_u32_e32 v0, v33, v0
	v_add_nc_u32_e32 v1, v32, v1
	s_delay_alu instid0(VALU_DEP_2) | instskip(NEXT) | instid1(VALU_DEP_2)
	v_lshrrev_b32_e32 v0, s54, v0
	v_lshrrev_b32_e32 v1, s54, v1
	s_delay_alu instid0(VALU_DEP_2) | instskip(NEXT) | instid1(VALU_DEP_2)
	v_mul_hi_u32 v2, v0, s49
	v_mul_hi_u32 v3, v1, s49
	v_mad_u64_u32 v[42:43], null, s96, v1, v[32:33]
	v_mul_lo_u32 v6, s96, v0
	s_delay_alu instid0(VALU_DEP_4) | instskip(NEXT) | instid1(VALU_DEP_4)
	v_add_nc_u32_e32 v2, v0, v2
	v_add_nc_u32_e32 v3, v1, v3
	s_delay_alu instid0(VALU_DEP_3) | instskip(NEXT) | instid1(VALU_DEP_3)
	v_sub_nc_u32_e32 v9, v6, v64
	v_lshrrev_b32_e32 v2, s53, v2
	s_delay_alu instid0(VALU_DEP_3) | instskip(SKIP_1) | instid1(VALU_DEP_3)
	v_lshrrev_b32_e32 v3, s53, v3
	v_add_nc_u32_e32 v6, v33, v6
	v_mul_hi_u32 v4, v2, s48
	s_delay_alu instid0(VALU_DEP_3)
	v_mul_hi_u32 v5, v3, s48
	v_mul_lo_u32 v7, v2, s45
	v_mul_lo_u32 v8, v3, s45
	v_sub_nc_u32_e32 v6, v42, v6
	v_add_nc_u32_e32 v4, v2, v4
	v_add_nc_u32_e32 v5, v3, v5
	v_sub_nc_u32_e32 v0, v0, v7
	v_sub_nc_u32_e32 v64, v1, v8
	v_add_nc_u32_e32 v1, v33, v9
	v_lshrrev_b32_e32 v4, s52, v4
	v_lshrrev_b32_e32 v43, s52, v5
	v_sub_nc_u32_e32 v8, v0, v58
	v_sub_nc_u32_e32 v0, v64, v0
	v_mul_lo_u32 v1, v1, s92
	v_mul_lo_u32 v5, v4, s44
	;; [unrolled: 1-line block ×4, first 2 shown]
	s_delay_alu instid0(VALU_DEP_3) | instskip(SKIP_3) | instid1(VALU_DEP_4)
	v_sub_nc_u32_e32 v2, v2, v5
	v_sub_nc_u32_e32 v5, v4, v57
	;; [unrolled: 1-line block ×5, first 2 shown]
	v_mul_lo_u32 v59, v0, s90
	v_mul_lo_u32 v99, v5, s86
	;; [unrolled: 1-line block ×3, first 2 shown]
	v_sub_nc_u32_e32 v0, v65, v2
	v_mul_lo_u32 v101, v3, s88
	v_mul_lo_u32 v3, v98, s27
	;; [unrolled: 1-line block ×3, first 2 shown]
	s_delay_alu instid0(VALU_DEP_4)
	v_mul_lo_u32 v102, v0, s88
	v_mul_lo_u32 v4, v59, s27
	;; [unrolled: 1-line block ×5, first 2 shown]
	v_add3_u32 v1, v1, v60, v3
	v_add_nc_u32_e32 v32, v99, v63
	v_mul_lo_u32 v3, v102, s26
	v_add3_u32 v2, v4, v2, v5
	s_delay_alu instid0(VALU_DEP_4)
	v_add3_u32 v8, v1, v0, v6
	v_add_nc_u32_e32 v0, v48, v44
	v_add_nc_u32_e32 v4, v47, v44
	;; [unrolled: 1-line block ×3, first 2 shown]
	v_cmp_gt_i32_e64 s10, s83, v32
	v_add3_u32 v60, v2, v8, v3
	s_clause 0x1
	buffer_load_b128 v[0:3], v0, s[60:63], 0 offen
	buffer_load_b128 v[4:7], v4, s[60:63], 0 offen
	s_clause 0x1
	buffer_load_b128 v[8:11], v8, s[56:59], 0 offen
	buffer_load_b128 v[12:15], v60, s[56:59], 0 offen
	s_waitcnt vmcnt(0) lgkmcnt(0)
	s_waitcnt_vscnt null, 0x0
	s_barrier
	s_clause 0x3
	scratch_load_b32 v18, off, off offset:80
	scratch_load_b64 v[16:17], off, off offset:400
	scratch_load_b32 v22, off, off offset:112
	scratch_load_b64 v[20:21], off, off offset:416
	s_clause 0x3
	scratch_store_b128 off, v[38:41], off
	scratch_store_b128 off, v[38:41], off offset:16
	scratch_store_b128 off, v[38:41], off offset:32
	;; [unrolled: 1-line block ×3, first 2 shown]
	v_add_nc_u32_e32 v62, v98, v62
	v_add_nc_u32_e32 v103, s82, v48
	;; [unrolled: 1-line block ×3, first 2 shown]
	s_delay_alu instid0(VALU_DEP_3) | instskip(SKIP_4) | instid1(VALU_DEP_4)
	v_cmp_le_i32_e64 s5, s43, v62
	v_cmp_gt_i32_e64 s6, s42, v62
	v_add_nc_u32_e32 v62, v59, v62
	v_cmp_gt_i32_e64 s7, s94, v103
	v_cmp_gt_i32_e64 s8, s94, v98
	s_and_b32 s11, s5, s6
	s_delay_alu instid0(VALU_DEP_3) | instskip(SKIP_2) | instid1(VALU_DEP_2)
	v_cmp_le_i32_e64 s6, s43, v62
	v_cmp_gt_i32_e64 s9, s42, v62
	v_cmp_le_i32_e64 s5, s37, v32
	s_and_b32 s19, s6, s9
	v_cmp_gt_i32_e64 s6, s83, v63
	s_delay_alu instid0(VALU_DEP_2)
	s_and_b32 s5, s5, s10
	s_and_b32 s4, s4, s19
	s_waitcnt vmcnt(3)
	v_ashrrev_i32_e32 v19, 31, v18
	s_waitcnt vmcnt(2)
	v_add_co_u32 v57, vcc_lo, v16, v18
	s_waitcnt vmcnt(1)
	v_ashrrev_i32_e32 v23, 31, v22
	v_add_co_ci_u32_e32 v58, vcc_lo, v17, v19, vcc_lo
	s_waitcnt vmcnt(0)
	v_add_co_u32 v24, vcc_lo, v20, v22
	s_delay_alu instid0(VALU_DEP_3) | instskip(SKIP_4) | instid1(VALU_DEP_1)
	v_add_co_ci_u32_e32 v25, vcc_lo, v21, v23, vcc_lo
	flat_load_b128 v[16:19], v[57:58]
	v_cmp_gt_i32_e32 vcc_lo, s93, v33
	v_add_nc_u32_e32 v33, v101, v61
	s_and_b32 s15, vcc_lo, s11
	v_add_nc_u32_e32 v61, v102, v33
	v_cmp_le_i32_e64 s9, s40, v33
	v_cmp_gt_i32_e64 s11, s39, v33
	v_cmp_le_i32_e32 vcc_lo, s37, v63
	s_delay_alu instid0(VALU_DEP_4) | instskip(SKIP_1) | instid1(VALU_DEP_4)
	v_cmp_le_i32_e64 s12, s40, v61
	v_cmp_gt_i32_e64 s13, s39, v61
	s_and_b32 s9, s9, s11
	s_and_b32 s6, vcc_lo, s6
	s_and_b32 s9, s15, s9
	s_and_b32 vcc_lo, s2, s7
	s_and_b32 s10, s12, s13
	s_and_b32 s5, s5, s9
	s_and_b32 s4, s4, s10
	v_dual_cndmask_b32 v99, 0, v3 :: v_dual_cndmask_b32 v100, 0, v2
	v_dual_cndmask_b32 v101, 0, v1 :: v_dual_cndmask_b32 v102, 0, v0
	s_and_b32 vcc_lo, s2, s8
	s_and_b32 s4, s6, s4
	v_dual_cndmask_b32 v103, 0, v7 :: v_dual_cndmask_b32 v104, 0, v6
	v_dual_cndmask_b32 v105, 0, v5 :: v_dual_cndmask_b32 v106, 0, v4
	s_and_b32 vcc_lo, s3, s5
	v_dual_cndmask_b32 v59, 0, v11 :: v_dual_cndmask_b32 v98, 0, v10
	v_dual_cndmask_b32 v107, 0, v9 :: v_dual_cndmask_b32 v108, 0, v8
	s_and_b32 vcc_lo, s3, s4
	v_dual_cndmask_b32 v112, 0, v12 :: v_dual_cndmask_b32 v109, 0, v15
	v_dual_cndmask_b32 v110, 0, v14 :: v_dual_cndmask_b32 v111, 0, v13
	s_waitcnt vmcnt(0) lgkmcnt(0)
	scratch_store_b128 off, v[16:19], off
	flat_load_b128 v[20:23], v[24:25]
	s_waitcnt vmcnt(0) lgkmcnt(0)
	scratch_store_b128 off, v[20:23], off offset:32
	flat_load_b128 v[24:27], v[24:25] offset:256
	s_clause 0x7
	scratch_load_b128 v[28:31], off, off offset:144
	scratch_load_b128 v[66:69], off, off offset:176
	;; [unrolled: 1-line block ×8, first 2 shown]
	s_waitcnt vmcnt(8) lgkmcnt(0)
	scratch_store_b128 off, v[24:27], off offset:48
	flat_load_b128 v[94:97], v[57:58] offset:256
	s_waitcnt vmcnt(8)
	v_dot4_i32_iu8 v0, v16, v20, v28 neg_lo:[1,1,0]
	v_dot4_i32_iu8 v1, v16, v21, v29 neg_lo:[1,1,0]
	v_dot4_i32_iu8 v2, v16, v22, v30 neg_lo:[1,1,0]
	v_dot4_i32_iu8 v3, v16, v23, v31 neg_lo:[1,1,0]
	s_waitcnt vmcnt(7)
	v_dot4_i32_iu8 v4, v17, v20, v66 neg_lo:[1,1,0]
	v_dot4_i32_iu8 v5, v17, v21, v67 neg_lo:[1,1,0]
	v_dot4_i32_iu8 v6, v17, v22, v68 neg_lo:[1,1,0]
	v_dot4_i32_iu8 v7, v17, v23, v69 neg_lo:[1,1,0]
	;; [unrolled: 5-line block ×8, first 2 shown]
	v_mul_hi_u32 v57, s50, v54
	v_mul_hi_u32 v58, s50, v53
	s_clause 0x7
	scratch_store_b128 off, v[0:3], off offset:144
	scratch_store_b128 off, v[20:23], off offset:160
	scratch_store_b128 off, v[4:7], off offset:176
	scratch_store_b128 off, v[28:31], off offset:192
	scratch_store_b128 off, v[8:11], off offset:208
	scratch_store_b128 off, v[66:69], off offset:224
	scratch_store_b128 off, v[12:15], off offset:240
	scratch_store_b128 off, v[16:19], off offset:256
	s_waitcnt vmcnt(0) lgkmcnt(0)
	scratch_store_b128 off, v[94:97], off offset:16
	v_dual_mov_b32 v0, s70 :: v_dual_mov_b32 v1, s67
	v_dual_mov_b32 v2, s71 :: v_dual_mov_b32 v7, s81
	;; [unrolled: 1-line block ×3, first 2 shown]
	v_mov_b32_e32 v9, s73
	v_dual_mov_b32 v5, s80 :: v_dual_mov_b32 v6, s77
	v_dual_mov_b32 v11, s72 :: v_dual_mov_b32 v8, s66
	v_mov_b32_e32 v10, s69
	s_swappc_b64 s[30:31], s[22:23]
	s_clause 0xe
	scratch_load_b32 v78, off, off offset:16
	scratch_load_b32 v79, off, off offset:32
	scratch_load_b128 v[0:3], off, off offset:272
	scratch_load_b128 v[4:7], off, off offset:32
	;; [unrolled: 1-line block ×6, first 2 shown]
	scratch_load_b32 v8, off, off offset:48
	scratch_load_b128 v[24:27], off, off offset:288
	scratch_load_b128 v[28:31], off, off offset:48
	scratch_load_b128 v[66:69], off, off offset:320
	scratch_load_b128 v[70:73], off, off offset:352
	scratch_load_b128 v[74:77], off, off offset:384
	scratch_load_b64 v[32:33], off, off offset:432
	v_perm_b32 v80, v108, v108, 0x3020104
	v_perm_b32 v81, v98, v98, 0x3020104
	;; [unrolled: 1-line block ×4, first 2 shown]
	v_add_nc_u32_e32 v97, s28, v52
	v_add_nc_u32_e32 v98, s28, v51
	v_add3_u32 v36, s41, s41, v36
	s_waitcnt vmcnt(12)
	v_dot4_i32_iu8 v0, v78, v79, v0 neg_lo:[1,1,0]
	s_waitcnt vmcnt(11)
	v_dot4_i32_iu8 v1, v78, v5, v1 neg_lo:[1,1,0]
	v_dot4_i32_iu8 v2, v78, v6, v2 neg_lo:[1,1,0]
	v_dot4_i32_iu8 v3, v78, v7, v3 neg_lo:[1,1,0]
	s_waitcnt vmcnt(9)
	v_dot4_i32_iu8 v13, v9, v5, v13 neg_lo:[1,1,0]
	v_dot4_i32_iu8 v14, v9, v6, v14 neg_lo:[1,1,0]
	;; [unrolled: 4-line block ×4, first 2 shown]
	v_dot4_i32_iu8 v6, v11, v6, v22 neg_lo:[1,1,0]
	v_dot4_i32_iu8 v7, v11, v7, v23 neg_lo:[1,1,0]
	s_waitcnt vmcnt(5)
	v_dot4_i32_iu8 v20, v78, v8, v24 neg_lo:[1,1,0]
	s_waitcnt vmcnt(4)
	v_dot4_i32_iu8 v21, v78, v29, v25 neg_lo:[1,1,0]
	v_dot4_i32_iu8 v22, v78, v30, v26 neg_lo:[1,1,0]
	;; [unrolled: 1-line block ×4, first 2 shown]
	s_waitcnt vmcnt(3)
	v_dot4_i32_iu8 v24, v9, v8, v66 neg_lo:[1,1,0]
	v_dot4_i32_iu8 v25, v9, v29, v67 neg_lo:[1,1,0]
	;; [unrolled: 1-line block ×4, first 2 shown]
	s_waitcnt vmcnt(0)
	v_add_co_u32 v28, vcc_lo, v32, v34
	v_dot4_i32_iu8 v16, v10, v79, v16 neg_lo:[1,1,0]
	v_dot4_i32_iu8 v66, v10, v8, v70 neg_lo:[1,1,0]
	;; [unrolled: 1-line block ×9, first 2 shown]
	v_add_co_ci_u32_e32 v29, vcc_lo, 0, v33, vcc_lo
	s_clause 0x7
	scratch_store_b128 off, v[0:3], off offset:272
	scratch_store_b128 off, v[20:23], off offset:288
	;; [unrolled: 1-line block ×8, first 2 shown]
	s_clause 0x7
	flat_store_b32 v[28:29], v80
	flat_store_b32 v[28:29], v107 offset:512
	flat_store_b32 v[28:29], v81 offset:1024
	;; [unrolled: 1-line block ×7, first 2 shown]
	scratch_load_b64 v[20:21], off, off offset:448
	v_add_nc_u32_e32 v0, v97, v57
	v_add_nc_u32_e32 v12, v45, v44
	s_delay_alu instid0(VALU_DEP_2) | instskip(SKIP_1) | instid1(VALU_DEP_2)
	v_lshrrev_b32_e32 v3, s54, v0
	v_add_nc_u32_e32 v0, v98, v58
	v_mul_hi_u32 v1, v3, s49
	s_delay_alu instid0(VALU_DEP_2) | instskip(NEXT) | instid1(VALU_DEP_1)
	v_lshrrev_b32_e32 v107, s54, v0
	v_mul_hi_u32 v0, v107, s49
	s_delay_alu instid0(VALU_DEP_3) | instskip(NEXT) | instid1(VALU_DEP_1)
	v_add_nc_u32_e32 v1, v3, v1
	v_lshrrev_b32_e32 v4, s53, v1
	s_delay_alu instid0(VALU_DEP_3) | instskip(NEXT) | instid1(VALU_DEP_2)
	v_add_nc_u32_e32 v0, v107, v0
	v_mul_hi_u32 v1, v4, s48
	s_delay_alu instid0(VALU_DEP_2) | instskip(SKIP_1) | instid1(VALU_DEP_2)
	v_lshrrev_b32_e32 v5, s53, v0
	v_mul_lo_u32 v6, v4, s45
	v_mul_hi_u32 v7, v5, s48
	s_delay_alu instid0(VALU_DEP_4) | instskip(SKIP_2) | instid1(VALU_DEP_3)
	v_add_nc_u32_e32 v8, v4, v1
	v_mad_u64_u32 v[0:1], null, s96, v3, v[97:98]
	v_mad_u64_u32 v[1:2], null, s96, v107, v[98:99]
	v_lshrrev_b32_e32 v2, s52, v8
	v_add_nc_u32_e32 v7, v5, v7
	v_mul_lo_u32 v8, v5, s45
	v_sub_nc_u32_e32 v3, v3, v6
	v_sub_nc_u32_e32 v9, v0, v42
	v_mul_lo_u32 v6, v2, s44
	v_lshrrev_b32_e32 v57, s52, v7
	v_sub_nc_u32_e32 v0, v1, v0
	v_sub_nc_u32_e32 v1, v3, v64
	;; [unrolled: 1-line block ×4, first 2 shown]
	v_mul_lo_u32 v8, v57, s44
	v_mul_lo_u32 v0, v0, s92
	v_sub_nc_u32_e32 v4, v4, v6
	v_mul_lo_u32 v42, v1, s90
	v_sub_nc_u32_e32 v3, v58, v3
	v_sub_nc_u32_e32 v1, v57, v2
	v_mul_lo_u32 v43, v7, s86
	v_sub_nc_u32_e32 v2, v4, v65
	v_sub_nc_u32_e32 v59, v5, v8
	v_mul_lo_u32 v64, v3, s90
	v_mul_lo_u32 v108, v1, s86
	v_mul_lo_u32 v1, v9, s92
	v_mul_lo_u32 v109, v2, s88
	v_sub_nc_u32_e32 v3, v59, v4
	v_mul_lo_u32 v2, v42, s27
	v_mul_lo_u32 v4, v43, s25
	v_perm_b32 v7, v102, v102, 0x3020104
	v_mul_lo_u32 v5, v64, s27
	v_mul_lo_u32 v6, v108, s25
	;; [unrolled: 1-line block ×4, first 2 shown]
	v_add_nc_u32_e32 v9, v46, v44
	v_perm_b32 v8, v104, v104, 0x3020104
	v_add3_u32 v1, v2, v1, v4
	v_perm_b32 v2, v100, v100, 0x3020104
	v_perm_b32 v4, v106, v106, 0x3020104
	v_add3_u32 v5, v5, v0, v6
	v_mul_lo_u32 v6, v110, s26
	v_add3_u32 v3, v1, v3, v60
	s_delay_alu instid0(VALU_DEP_1)
	v_add3_u32 v60, v5, v6, v3
	s_waitcnt vmcnt(0)
	v_add_co_u32 v0, vcc_lo, v20, v34
	v_add_co_ci_u32_e32 v1, vcc_lo, 0, v21, vcc_lo
	s_clause 0x7
	flat_store_b32 v[0:1], v7
	flat_store_b32 v[0:1], v101 offset:512
	flat_store_b32 v[0:1], v2 offset:1024
	;; [unrolled: 1-line block ×7, first 2 shown]
	s_clause 0x1
	buffer_load_b128 v[0:3], v3, s[56:59], 0 offen
	buffer_load_b128 v[4:7], v60, s[56:59], 0 offen
	s_clause 0x1
	buffer_load_b128 v[8:11], v9, s[60:63], 0 offen
	buffer_load_b128 v[12:15], v12, s[60:63], 0 offen
	s_waitcnt vmcnt(0) lgkmcnt(0)
	s_waitcnt_vscnt null, 0x0
	s_barrier
	s_clause 0x1
	scratch_load_b32 v16, off, off offset:80
	scratch_load_b32 v22, off, off offset:112
	s_clause 0x3
	scratch_store_b128 off, v[38:41], off
	scratch_store_b128 off, v[38:41], off offset:16
	scratch_store_b128 off, v[38:41], off offset:32
	;; [unrolled: 1-line block ×3, first 2 shown]
	v_add_nc_u32_e32 v42, v42, v62
	s_delay_alu instid0(VALU_DEP_1) | instskip(SKIP_2) | instid1(VALU_DEP_2)
	v_cmp_le_i32_e64 s6, s43, v42
	v_cmp_gt_i32_e64 s7, s42, v42
	v_add_nc_u32_e32 v62, v64, v42
	s_and_b32 s11, s6, s7
	s_delay_alu instid0(VALU_DEP_1) | instskip(SKIP_1) | instid1(VALU_DEP_1)
	v_cmp_le_i32_e64 s7, s43, v62
	v_cmp_gt_i32_e64 s9, s42, v62
	s_and_b32 s19, s7, s9
	s_waitcnt vmcnt(1)
	v_ashrrev_i32_e32 v17, 31, v16
	v_add_co_u32 v32, vcc_lo, v32, v16
	s_waitcnt vmcnt(0)
	v_ashrrev_i32_e32 v23, 31, v22
	s_delay_alu instid0(VALU_DEP_3) | instskip(SKIP_1) | instid1(VALU_DEP_3)
	v_add_co_ci_u32_e32 v33, vcc_lo, v33, v17, vcc_lo
	v_add_co_u32 v24, vcc_lo, v20, v22
	v_add_co_ci_u32_e32 v25, vcc_lo, v21, v23, vcc_lo
	flat_load_b128 v[16:19], v[32:33]
	v_cmp_gt_i32_e32 vcc_lo, s93, v97
	v_mul_lo_u32 v97, v107, s46
	s_and_b32 s15, vcc_lo, s11
	s_delay_alu instid0(VALU_DEP_1)
	v_sub_nc_u32_e32 v64, v36, v97
	s_waitcnt vmcnt(0) lgkmcnt(0)
	scratch_store_b128 off, v[16:19], off
	flat_load_b128 v[20:23], v[24:25]
	s_waitcnt vmcnt(0) lgkmcnt(0)
	scratch_store_b128 off, v[20:23], off offset:32
	flat_load_b128 v[24:27], v[24:25] offset:256
	s_clause 0x7
	scratch_load_b128 v[28:31], off, off offset:144
	scratch_load_b128 v[65:68], off, off offset:176
	;; [unrolled: 1-line block ×8, first 2 shown]
	s_waitcnt vmcnt(8) lgkmcnt(0)
	scratch_store_b128 off, v[24:27], off offset:48
	flat_load_b128 v[93:96], v[32:33] offset:256
	v_add_nc_u32_e32 v33, s82, v45
	v_add_nc_u32_e32 v32, s82, v46
	s_delay_alu instid0(VALU_DEP_2) | instskip(SKIP_1) | instid1(VALU_DEP_3)
	v_cmp_gt_i32_e64 s8, s94, v33
	v_add_nc_u32_e32 v33, v109, v61
	v_cmp_gt_i32_e64 s5, s94, v32
	v_add_nc_u32_e32 v32, v43, v63
	s_delay_alu instid0(VALU_DEP_3) | instskip(SKIP_1) | instid1(VALU_DEP_3)
	v_cmp_le_i32_e64 s9, s40, v33
	v_cmp_gt_i32_e64 s11, s39, v33
	v_add_nc_u32_e32 v63, v108, v32
	v_cmp_le_i32_e64 s6, s37, v32
	v_cmp_gt_i32_e64 s10, s83, v32
	v_add_nc_u32_e32 v61, v110, v33
	s_and_b32 s9, s9, s11
	v_cmp_le_i32_e32 vcc_lo, s37, v63
	v_cmp_gt_i32_e64 s7, s83, v63
	s_and_b32 s6, s6, s10
	s_and_b32 s9, s15, s9
	v_cmp_le_i32_e64 s12, s40, v61
	s_and_b32 s6, s6, s9
	s_and_b32 s7, vcc_lo, s7
	s_and_b32 vcc_lo, s3, s6
	v_cmp_gt_i32_e64 s13, s39, v61
	v_cndmask_b32_e32 v97, 0, v1, vcc_lo
	v_cmp_gt_i32_e64 s4, s93, v98
	v_dual_cndmask_b32 v42, 0, v3 :: v_dual_cndmask_b32 v43, 0, v2
	s_delay_alu instid0(VALU_DEP_4) | instskip(SKIP_1) | instid1(VALU_DEP_3)
	s_and_b32 s10, s12, s13
	v_cndmask_b32_e32 v98, 0, v0, vcc_lo
	s_and_b32 s4, s4, s19
	s_waitcnt vmcnt(8)
	v_dot4_i32_iu8 v0, v16, v20, v28 neg_lo:[1,1,0]
	s_and_b32 s4, s4, s10
	v_dot4_i32_iu8 v1, v16, v21, v29 neg_lo:[1,1,0]
	s_and_b32 s4, s7, s4
	v_dot4_i32_iu8 v2, v16, v22, v30 neg_lo:[1,1,0]
	s_and_b32 vcc_lo, s3, s4
	v_dot4_i32_iu8 v3, v16, v23, v31 neg_lo:[1,1,0]
	v_dual_cndmask_b32 v99, 0, v7 :: v_dual_cndmask_b32 v100, 0, v6
	v_dual_cndmask_b32 v101, 0, v5 :: v_dual_cndmask_b32 v102, 0, v4
	s_and_b32 vcc_lo, s2, s5
	s_waitcnt vmcnt(7)
	v_dot4_i32_iu8 v4, v17, v20, v65 neg_lo:[1,1,0]
	v_dual_cndmask_b32 v103, 0, v11 :: v_dual_cndmask_b32 v104, 0, v10
	v_dual_cndmask_b32 v105, 0, v9 :: v_dual_cndmask_b32 v106, 0, v8
	s_and_b32 vcc_lo, s2, s8
	v_dot4_i32_iu8 v5, v17, v21, v66 neg_lo:[1,1,0]
	v_dual_cndmask_b32 v110, 0, v12 :: v_dual_cndmask_b32 v107, 0, v15
	v_dual_cndmask_b32 v108, 0, v14 :: v_dual_cndmask_b32 v109, 0, v13
	v_dot4_i32_iu8 v6, v17, v22, v67 neg_lo:[1,1,0]
	v_dot4_i32_iu8 v7, v17, v23, v68 neg_lo:[1,1,0]
	s_waitcnt vmcnt(6)
	v_dot4_i32_iu8 v8, v18, v20, v69 neg_lo:[1,1,0]
	v_dot4_i32_iu8 v9, v18, v21, v70 neg_lo:[1,1,0]
	v_dot4_i32_iu8 v10, v18, v22, v71 neg_lo:[1,1,0]
	v_dot4_i32_iu8 v11, v18, v23, v72 neg_lo:[1,1,0]
	s_waitcnt vmcnt(5)
	v_dot4_i32_iu8 v12, v19, v20, v73 neg_lo:[1,1,0]
	v_dot4_i32_iu8 v13, v19, v21, v74 neg_lo:[1,1,0]
	;; [unrolled: 5-line block ×6, first 2 shown]
	v_dot4_i32_iu8 v18, v19, v26, v91 neg_lo:[1,1,0]
	v_dot4_i32_iu8 v19, v19, v27, v92 neg_lo:[1,1,0]
	s_clause 0x7
	scratch_store_b128 off, v[0:3], off offset:144
	scratch_store_b128 off, v[20:23], off offset:160
	;; [unrolled: 1-line block ×8, first 2 shown]
	s_waitcnt vmcnt(0) lgkmcnt(0)
	scratch_store_b128 off, v[93:96], off offset:16
	v_dual_mov_b32 v0, s70 :: v_dual_mov_b32 v5, s80
	v_dual_mov_b32 v1, s67 :: v_dual_mov_b32 v2, s17
	v_mov_b32_e32 v7, s81
	v_dual_mov_b32 v3, s78 :: v_dual_mov_b32 v4, s76
	v_dual_mov_b32 v9, s73 :: v_dual_mov_b32 v6, s77
	;; [unrolled: 1-line block ×3, first 2 shown]
	v_mov_b32_e32 v10, s75
	s_swappc_b64 s[30:31], s[22:23]
	s_clause 0xe
	scratch_load_b32 v77, off, off offset:16
	scratch_load_b32 v78, off, off offset:32
	scratch_load_b128 v[0:3], off, off offset:272
	scratch_load_b128 v[4:7], off, off offset:32
	;; [unrolled: 1-line block ×6, first 2 shown]
	scratch_load_b32 v8, off, off offset:48
	scratch_load_b128 v[24:27], off, off offset:288
	scratch_load_b128 v[28:31], off, off offset:48
	;; [unrolled: 1-line block ×5, first 2 shown]
	scratch_load_b64 v[32:33], off, off offset:400
	v_perm_b32 v79, v98, v98, 0x3020104
	v_perm_b32 v43, v43, v43, 0x3020104
	;; [unrolled: 1-line block ×4, first 2 shown]
	v_add_nc_u32_e32 v44, s91, v44
	v_add_nc_u32_e32 v56, s95, v56
	;; [unrolled: 1-line block ×5, first 2 shown]
	s_add_i32 s87, s87, 32
	s_add_i32 s82, s82, s91
	;; [unrolled: 1-line block ×3, first 2 shown]
	s_cmp_lt_i32 s87, s89
	s_waitcnt vmcnt(12)
	v_dot4_i32_iu8 v0, v77, v78, v0 neg_lo:[1,1,0]
	s_waitcnt vmcnt(11)
	v_dot4_i32_iu8 v1, v77, v5, v1 neg_lo:[1,1,0]
	v_dot4_i32_iu8 v2, v77, v6, v2 neg_lo:[1,1,0]
	v_dot4_i32_iu8 v3, v77, v7, v3 neg_lo:[1,1,0]
	s_waitcnt vmcnt(9)
	v_dot4_i32_iu8 v13, v9, v5, v13 neg_lo:[1,1,0]
	v_dot4_i32_iu8 v14, v9, v6, v14 neg_lo:[1,1,0]
	;; [unrolled: 4-line block ×4, first 2 shown]
	v_dot4_i32_iu8 v6, v11, v6, v22 neg_lo:[1,1,0]
	v_dot4_i32_iu8 v7, v11, v7, v23 neg_lo:[1,1,0]
	s_waitcnt vmcnt(5)
	v_dot4_i32_iu8 v20, v77, v8, v24 neg_lo:[1,1,0]
	s_waitcnt vmcnt(4)
	v_dot4_i32_iu8 v21, v77, v29, v25 neg_lo:[1,1,0]
	v_dot4_i32_iu8 v22, v77, v30, v26 neg_lo:[1,1,0]
	;; [unrolled: 1-line block ×4, first 2 shown]
	s_waitcnt vmcnt(3)
	v_dot4_i32_iu8 v24, v9, v8, v65 neg_lo:[1,1,0]
	v_dot4_i32_iu8 v25, v9, v29, v66 neg_lo:[1,1,0]
	;; [unrolled: 1-line block ×4, first 2 shown]
	s_waitcnt vmcnt(0)
	v_add_co_u32 v28, vcc_lo, v32, v34
	v_dot4_i32_iu8 v16, v10, v78, v16 neg_lo:[1,1,0]
	v_dot4_i32_iu8 v65, v10, v8, v69 neg_lo:[1,1,0]
	;; [unrolled: 1-line block ×9, first 2 shown]
	v_add_co_ci_u32_e32 v29, vcc_lo, 0, v33, vcc_lo
	s_clause 0x7
	scratch_store_b128 off, v[0:3], off offset:272
	scratch_store_b128 off, v[20:23], off offset:288
	;; [unrolled: 1-line block ×8, first 2 shown]
	s_clause 0x7
	flat_store_b32 v[28:29], v79
	flat_store_b32 v[28:29], v97 offset:512
	flat_store_b32 v[28:29], v43 offset:1024
	;; [unrolled: 1-line block ×7, first 2 shown]
	scratch_load_b64 v[0:1], off, off offset:416
	v_perm_b32 v2, v106, v106, 0x3020104
	v_perm_b32 v3, v104, v104, 0x3020104
	;; [unrolled: 1-line block ×4, first 2 shown]
	s_waitcnt vmcnt(0)
	v_add_co_u32 v0, vcc_lo, v0, v34
	v_add_co_ci_u32_e32 v1, vcc_lo, 0, v1, vcc_lo
	s_clause 0x7
	flat_store_b32 v[0:1], v2
	flat_store_b32 v[0:1], v105 offset:512
	flat_store_b32 v[0:1], v3 offset:1024
	;; [unrolled: 1-line block ×7, first 2 shown]
	s_cbranch_scc1 .LBB11_1
; %bb.2:
	s_waitcnt lgkmcnt(0)
	s_waitcnt_vscnt null, 0x0
	s_barrier
	buffer_gl0_inv
	s_clause 0x1
	scratch_load_b32 v8, off, off offset:80
	scratch_load_b64 v[4:5], off, off offset:400
	s_mov_b32 s4, 0
	s_clause 0x1
	scratch_load_b32 v9, off, off offset:112
	scratch_load_b64 v[6:7], off, off offset:416
	s_mov_b32 s5, s4
	s_mov_b32 s6, s4
	;; [unrolled: 1-line block ×3, first 2 shown]
	v_dual_mov_b32 v0, s4 :: v_dual_mov_b32 v1, s5
	v_dual_mov_b32 v2, s6 :: v_dual_mov_b32 v3, s7
	s_clause 0x3
	scratch_store_b128 off, v[0:3], off
	scratch_store_b128 off, v[0:3], off offset:16
	scratch_store_b128 off, v[0:3], off offset:32
	;; [unrolled: 1-line block ×3, first 2 shown]
	s_load_b64 s[0:1], s[0:1], 0x10
	s_mul_i32 s2, s20, s55
	s_mul_hi_u32 s3, s20, s51
	s_add_u32 s12, s84, s38
	s_addc_u32 s13, s85, s16
	s_add_i32 s6, s3, s2
	s_mov_b64 s[2:3], src_private_base
	s_mul_i32 s4, s21, s51
	s_mul_i32 s5, s20, s51
	s_add_i32 s6, s6, s4
	s_waitcnt lgkmcnt(0)
	s_add_u32 s16, s0, s5
	s_addc_u32 s17, s1, s6
	s_waitcnt vmcnt(3)
	v_ashrrev_i32_e32 v10, 31, v8
	s_waitcnt vmcnt(2)
	v_add_co_u32 v32, vcc_lo, v4, v8
	s_waitcnt vmcnt(1)
	v_ashrrev_i32_e32 v4, 31, v9
	v_add_co_ci_u32_e32 v33, vcc_lo, v5, v10, vcc_lo
	s_waitcnt vmcnt(0)
	v_add_co_u32 v8, vcc_lo, v6, v9
	s_delay_alu instid0(VALU_DEP_3)
	v_add_co_ci_u32_e32 v9, vcc_lo, v7, v4, vcc_lo
	flat_load_b128 v[0:3], v[32:33]
	s_waitcnt vmcnt(0) lgkmcnt(0)
	scratch_store_b128 off, v[0:3], off
	flat_load_b128 v[4:7], v[8:9]
	s_waitcnt vmcnt(0) lgkmcnt(0)
	scratch_store_b128 off, v[4:7], off offset:32
	flat_load_b128 v[8:11], v[8:9] offset:256
	s_clause 0x7
	scratch_load_b128 v[12:15], off, off offset:144
	scratch_load_b128 v[16:19], off, off offset:176
	;; [unrolled: 1-line block ×8, first 2 shown]
	s_waitcnt vmcnt(8) lgkmcnt(0)
	scratch_store_b128 off, v[8:11], off offset:48
	flat_load_b128 v[50:53], v[32:33] offset:256
	s_waitcnt vmcnt(8)
	v_dot4_i32_iu8 v12, v0, v4, v12 neg_lo:[1,1,0]
	v_dot4_i32_iu8 v13, v0, v5, v13 neg_lo:[1,1,0]
	v_dot4_i32_iu8 v14, v0, v6, v14 neg_lo:[1,1,0]
	v_dot4_i32_iu8 v15, v0, v7, v15 neg_lo:[1,1,0]
	s_waitcnt vmcnt(7)
	v_dot4_i32_iu8 v16, v1, v4, v16 neg_lo:[1,1,0]
	v_dot4_i32_iu8 v17, v1, v5, v17 neg_lo:[1,1,0]
	v_dot4_i32_iu8 v18, v1, v6, v18 neg_lo:[1,1,0]
	v_dot4_i32_iu8 v19, v1, v7, v19 neg_lo:[1,1,0]
	;; [unrolled: 5-line block ×8, first 2 shown]
	v_mov_b32_e32 v8, s66
	v_dual_mov_b32 v10, s69 :: v_dual_mov_b32 v11, s72
	s_clause 0x7
	scratch_store_b128 off, v[12:15], off offset:144
	scratch_store_b128 off, v[24:27], off offset:160
	;; [unrolled: 1-line block ×8, first 2 shown]
	s_waitcnt vmcnt(0) lgkmcnt(0)
	scratch_store_b128 off, v[50:53], off offset:16
	v_dual_mov_b32 v0, s70 :: v_dual_mov_b32 v1, s67
	v_dual_mov_b32 v2, s71 :: v_dual_mov_b32 v3, s74
	;; [unrolled: 1-line block ×4, first 2 shown]
	v_mov_b32_e32 v7, s3
	s_swappc_b64 s[30:31], s[22:23]
	s_clause 0xd
	scratch_load_b32 v36, off, off offset:16
	scratch_load_b32 v62, off, off offset:32
	scratch_load_b128 v[0:3], off, off offset:272
	scratch_load_b128 v[4:7], off, off offset:32
	;; [unrolled: 1-line block ×6, first 2 shown]
	scratch_load_b32 v38, off, off offset:48
	scratch_load_b128 v[28:31], off, off offset:288
	scratch_load_b128 v[42:45], off, off offset:48
	;; [unrolled: 1-line block ×5, first 2 shown]
	v_lshl_add_u32 v53, s47, 7, v35
	v_lshl_add_u32 v52, s68, 7, v37
	s_mov_b32 s19, 0x31004000
	s_lshl_b32 s3, s35, 6
	s_mov_b32 s15, s19
	s_waitcnt vmcnt(10)
	v_mul_lo_u32 v4, v53, s34
	v_cmp_gt_i32_e64 s0, s36, v52
	v_cmp_gt_i32_e64 s1, s33, v53
	s_add_i32 s2, s3, s34
	v_or_b32_e32 v71, 2, v53
	v_or_b32_e32 v72, 3, v53
	s_delay_alu instid0(VALU_DEP_3)
	s_and_b32 vcc_lo, s1, s0
	v_dot4_i32_iu8 v32, v36, v62, v0 neg_lo:[1,1,0]
	v_mad_u64_u32 v[50:51], null, v52, s35, v[4:5]
	v_dot4_i32_iu8 v33, v36, v5, v1 neg_lo:[1,1,0]
	v_dot4_i32_iu8 v34, v36, v6, v2 neg_lo:[1,1,0]
	;; [unrolled: 1-line block ×3, first 2 shown]
	s_waitcnt vmcnt(4)
	v_dot4_i32_iu8 v28, v36, v38, v28 neg_lo:[1,1,0]
	s_waitcnt vmcnt(3)
	v_dot4_i32_iu8 v29, v36, v43, v29 neg_lo:[1,1,0]
	v_dot4_i32_iu8 v30, v36, v44, v30 neg_lo:[1,1,0]
	;; [unrolled: 1-line block ×11, first 2 shown]
	s_waitcnt vmcnt(2)
	v_dot4_i32_iu8 v20, v39, v38, v46 neg_lo:[1,1,0]
	v_dot4_i32_iu8 v21, v39, v43, v47 neg_lo:[1,1,0]
	;; [unrolled: 1-line block ×8, first 2 shown]
	s_waitcnt vmcnt(1)
	v_dot4_i32_iu8 v12, v40, v38, v54 neg_lo:[1,1,0]
	v_dot4_i32_iu8 v13, v40, v43, v55 neg_lo:[1,1,0]
	;; [unrolled: 1-line block ×4, first 2 shown]
	s_waitcnt vmcnt(0)
	v_dot4_i32_iu8 v4, v41, v38, v58 neg_lo:[1,1,0]
	v_dot4_i32_iu8 v5, v41, v43, v59 neg_lo:[1,1,0]
	;; [unrolled: 1-line block ×4, first 2 shown]
	s_clause 0x7
	scratch_store_b128 off, v[32:35], off offset:272
	scratch_store_b128 off, v[28:31], off offset:288
	;; [unrolled: 1-line block ×8, first 2 shown]
	buffer_load_b32 v36, v50, s[16:19], 0 offen
	scratch_load_b128 v[0:3], off, off offset:144
	v_or_b32_e32 v55, 1, v53
	s_waitcnt vmcnt(1)
	v_cndmask_b32_e32 v40, 0, v36, vcc_lo
	scratch_load_b128 v[36:39], off, off offset:160
	v_lshrrev_b32_e32 v41, 8, v40
	s_waitcnt vmcnt(1)
	s_delay_alu instid0(VALU_DEP_1) | instskip(NEXT) | instid1(VALU_DEP_1)
	v_add_nc_u16 v1, v41, v1
	v_bfe_i32 v1, v1, 0, 8
	s_delay_alu instid0(VALU_DEP_1) | instskip(NEXT) | instid1(VALU_DEP_1)
	v_max_i16 v1, v1, 0
	v_and_b32_e32 v1, 0xffff, v1
	v_lshrrev_b32_e32 v42, 16, v40
	v_lshrrev_b32_e32 v43, 24, v40
	v_add_nc_u16 v0, v40, v0
	v_add_nc_u32_e32 v40, s3, v50
	s_delay_alu instid0(VALU_DEP_4) | instskip(NEXT) | instid1(VALU_DEP_4)
	v_add_nc_u16 v2, v42, v2
	v_add_nc_u16 v3, v43, v3
	s_delay_alu instid0(VALU_DEP_4) | instskip(NEXT) | instid1(VALU_DEP_3)
	v_bfe_i32 v0, v0, 0, 8
	v_bfe_i32 v2, v2, 0, 8
	s_delay_alu instid0(VALU_DEP_3) | instskip(NEXT) | instid1(VALU_DEP_3)
	v_bfe_i32 v3, v3, 0, 8
	v_max_i16 v0, v0, 0
	s_delay_alu instid0(VALU_DEP_3) | instskip(NEXT) | instid1(VALU_DEP_3)
	v_max_i16 v54, v2, 0
	v_max_i16 v3, v3, 0
	s_delay_alu instid0(VALU_DEP_3) | instskip(NEXT) | instid1(VALU_DEP_3)
	v_and_b32_e32 v0, 0xffff, v0
	v_and_b32_e32 v2, 0xffff, v54
	s_delay_alu instid0(VALU_DEP_3) | instskip(SKIP_3) | instid1(VALU_DEP_1)
	v_and_b32_e32 v3, 0xffff, v3
	scratch_store_b128 off, v[0:3], off offset:144
	buffer_load_b32 v41, v40, s[16:19], 0 offen
	v_add_nc_u32_e32 v2, 64, v52
	v_cmp_gt_i32_e32 vcc_lo, s36, v2
	s_and_b32 s1, s1, vcc_lo
	s_waitcnt vmcnt(0)
	v_cndmask_b32_e64 v41, 0, v41, s1
	s_lshl_b32 s1, s35, 7
	s_delay_alu instid0(SALU_CYCLE_1) | instskip(SKIP_1) | instid1(VALU_DEP_2)
	s_sub_i32 s4, s2, s1
	v_cmp_gt_i32_e64 s1, s33, v55
	v_lshrrev_b32_e32 v42, 8, v41
	v_lshrrev_b32_e32 v43, 16, v41
	;; [unrolled: 1-line block ×3, first 2 shown]
	v_add_nc_u16 v36, v41, v36
	s_and_b32 s2, s1, s0
	v_add_nc_u16 v37, v42, v37
	v_add_nc_u16 v38, v43, v38
	;; [unrolled: 1-line block ×3, first 2 shown]
	v_bfe_i32 v36, v36, 0, 8
	v_add_nc_u32_e32 v44, s4, v40
	v_bfe_i32 v37, v37, 0, 8
	v_bfe_i32 v38, v38, 0, 8
	;; [unrolled: 1-line block ×3, first 2 shown]
	v_max_i16 v36, v36, 0
	scratch_load_b128 v[40:43], off, off offset:176
	v_max_i16 v37, v37, 0
	v_max_i16 v38, v38, 0
	;; [unrolled: 1-line block ×3, first 2 shown]
	v_and_b32_e32 v36, 0xffff, v36
	s_and_b32 s1, s1, vcc_lo
	v_and_b32_e32 v37, 0xffff, v37
	v_and_b32_e32 v38, 0xffff, v38
	;; [unrolled: 1-line block ×3, first 2 shown]
	scratch_store_b128 off, v[36:39], off offset:160
	buffer_load_b32 v36, v44, s[16:19], 0 offen
	s_waitcnt vmcnt(0)
	v_cndmask_b32_e64 v45, 0, v36, s2
	scratch_load_b128 v[36:39], off, off offset:160
	v_lshrrev_b32_e32 v46, 8, v45
	v_lshrrev_b32_e32 v47, 16, v45
	;; [unrolled: 1-line block ×3, first 2 shown]
	v_add_nc_u16 v40, v45, v40
	s_delay_alu instid0(VALU_DEP_4) | instskip(NEXT) | instid1(VALU_DEP_4)
	v_add_nc_u16 v41, v46, v41
	v_add_nc_u16 v42, v47, v42
	s_delay_alu instid0(VALU_DEP_4) | instskip(NEXT) | instid1(VALU_DEP_4)
	v_add_nc_u16 v43, v48, v43
	v_bfe_i32 v40, v40, 0, 8
	v_add_nc_u32_e32 v48, s3, v44
	v_bfe_i32 v41, v41, 0, 8
	v_bfe_i32 v42, v42, 0, 8
	;; [unrolled: 1-line block ×3, first 2 shown]
	v_max_i16 v40, v40, 0
	scratch_load_b128 v[44:47], off, off offset:192
	v_max_i16 v41, v41, 0
	v_max_i16 v42, v42, 0
	;; [unrolled: 1-line block ×3, first 2 shown]
	v_and_b32_e32 v40, 0xffff, v40
	v_add_nc_u32_e32 v60, s4, v48
	v_and_b32_e32 v41, 0xffff, v41
	v_and_b32_e32 v42, 0xffff, v42
	;; [unrolled: 1-line block ×3, first 2 shown]
	v_cmp_gt_i32_e64 s4, s24, v72
	v_add_nc_u32_e32 v68, s34, v60
	scratch_store_b128 off, v[40:43], off offset:176
	buffer_load_b32 v40, v48, s[16:19], 0 offen
	s_waitcnt vmcnt(2)
	v_lshlrev_b32_e32 v37, 8, v37
	v_lshlrev_b32_e32 v38, 16, v38
	;; [unrolled: 1-line block ×3, first 2 shown]
	s_delay_alu instid0(VALU_DEP_3) | instskip(NEXT) | instid1(VALU_DEP_3)
	v_perm_b32 v36, v37, v36, 0xc0c0500
	v_and_b32_e32 v37, 0xff0000, v38
	s_waitcnt vmcnt(0)
	v_cndmask_b32_e64 v49, 0, v40, s1
	scratch_load_b128 v[40:43], off, off offset:176
	v_cmp_gt_i32_e64 s1, s33, v71
	v_lshrrev_b32_e32 v50, 8, v49
	v_lshrrev_b32_e32 v51, 16, v49
	;; [unrolled: 1-line block ×3, first 2 shown]
	v_add_nc_u16 v44, v49, v44
	s_and_b32 s2, s1, s0
	v_add_nc_u16 v45, v50, v45
	v_add_nc_u16 v46, v51, v46
	;; [unrolled: 1-line block ×3, first 2 shown]
	v_bfe_i32 v44, v44, 0, 8
	scratch_load_b128 v[48:51], off, off offset:208
	v_bfe_i32 v45, v45, 0, 8
	v_bfe_i32 v46, v46, 0, 8
	;; [unrolled: 1-line block ×3, first 2 shown]
	v_max_i16 v44, v44, 0
	s_and_b32 s1, s1, vcc_lo
	v_max_i16 v45, v45, 0
	v_max_i16 v46, v46, 0
	;; [unrolled: 1-line block ×3, first 2 shown]
	v_and_b32_e32 v44, 0xffff, v44
	s_delay_alu instid0(VALU_DEP_4) | instskip(NEXT) | instid1(VALU_DEP_4)
	v_and_b32_e32 v45, 0xffff, v45
	v_and_b32_e32 v46, 0xffff, v46
	s_delay_alu instid0(VALU_DEP_4)
	v_and_b32_e32 v47, 0xffff, v47
	scratch_store_b128 off, v[44:47], off offset:192
	buffer_load_b32 v44, v60, s[16:19], 0 offen
	s_waitcnt vmcnt(2)
	v_lshlrev_b32_e32 v41, 8, v41
	v_lshlrev_b32_e32 v42, 16, v42
	s_waitcnt vmcnt(0)
	v_cndmask_b32_e64 v56, 0, v44, s2
	scratch_load_b128 v[44:47], off, off offset:192
	v_lshrrev_b32_e32 v57, 8, v56
	v_lshrrev_b32_e32 v58, 16, v56
	;; [unrolled: 1-line block ×3, first 2 shown]
	v_add_nc_u16 v48, v56, v48
	v_add_nc_u32_e32 v56, s3, v60
	v_add_nc_u16 v49, v57, v49
	v_add_nc_u16 v50, v58, v50
	;; [unrolled: 1-line block ×3, first 2 shown]
	v_bfe_i32 v48, v48, 0, 8
	s_delay_alu instid0(VALU_DEP_4) | instskip(NEXT) | instid1(VALU_DEP_4)
	v_bfe_i32 v49, v49, 0, 8
	v_bfe_i32 v50, v50, 0, 8
	s_delay_alu instid0(VALU_DEP_4) | instskip(NEXT) | instid1(VALU_DEP_4)
	v_bfe_i32 v51, v51, 0, 8
	v_max_i16 v48, v48, 0
	s_delay_alu instid0(VALU_DEP_4) | instskip(NEXT) | instid1(VALU_DEP_4)
	v_max_i16 v49, v49, 0
	v_max_i16 v50, v50, 0
	s_delay_alu instid0(VALU_DEP_4) | instskip(NEXT) | instid1(VALU_DEP_4)
	v_max_i16 v51, v51, 0
	v_and_b32_e32 v48, 0xffff, v48
	s_delay_alu instid0(VALU_DEP_4) | instskip(NEXT) | instid1(VALU_DEP_4)
	v_and_b32_e32 v49, 0xffff, v49
	v_and_b32_e32 v50, 0xffff, v50
	s_delay_alu instid0(VALU_DEP_4)
	v_and_b32_e32 v51, 0xffff, v51
	scratch_store_b128 off, v[48:51], off offset:208
	buffer_load_b32 v48, v56, s[16:19], 0 offen
	scratch_load_b128 v[56:59], off, off offset:224
	s_waitcnt vmcnt(1)
	v_cndmask_b32_e64 v61, 0, v48, s1
	scratch_load_b128 v[48:51], off, off offset:208
	v_cmp_gt_i32_e64 s1, s33, v72
	v_lshrrev_b32_e32 v62, 8, v61
	v_lshrrev_b32_e32 v63, 16, v61
	;; [unrolled: 1-line block ×3, first 2 shown]
	s_waitcnt vmcnt(1)
	v_add_nc_u16 v56, v61, v56
	s_and_b32 s2, s1, s0
	v_add_nc_u16 v57, v62, v57
	v_add_nc_u16 v58, v63, v58
	;; [unrolled: 1-line block ×3, first 2 shown]
	v_bfe_i32 v56, v56, 0, 8
	s_and_b32 s1, s1, vcc_lo
	v_bfe_i32 v57, v57, 0, 8
	v_bfe_i32 v58, v58, 0, 8
	;; [unrolled: 1-line block ×3, first 2 shown]
	v_max_i16 v56, v56, 0
	s_delay_alu instid0(VALU_DEP_4) | instskip(NEXT) | instid1(VALU_DEP_4)
	v_max_i16 v57, v57, 0
	v_max_i16 v58, v58, 0
	s_delay_alu instid0(VALU_DEP_4) | instskip(NEXT) | instid1(VALU_DEP_4)
	v_max_i16 v59, v59, 0
	v_and_b32_e32 v56, 0xffff, v56
	s_delay_alu instid0(VALU_DEP_4) | instskip(NEXT) | instid1(VALU_DEP_4)
	v_and_b32_e32 v57, 0xffff, v57
	v_and_b32_e32 v58, 0xffff, v58
	s_delay_alu instid0(VALU_DEP_4)
	v_and_b32_e32 v59, 0xffff, v59
	scratch_store_b128 off, v[56:59], off offset:224
	buffer_load_b32 v60, v68, s[16:19], 0 offen
	scratch_load_b128 v[56:59], off, off offset:240
	s_waitcnt vmcnt(1)
	v_cndmask_b32_e64 v64, 0, v60, s2
	scratch_load_b128 v[60:63], off, off offset:224
	v_lshrrev_b32_e32 v65, 8, v64
	v_lshrrev_b32_e32 v66, 16, v64
	;; [unrolled: 1-line block ×3, first 2 shown]
	s_waitcnt vmcnt(1)
	v_add_nc_u16 v56, v64, v56
	v_add_nc_u32_e32 v64, s3, v68
	v_add_nc_u16 v57, v65, v57
	v_add_nc_u16 v58, v66, v58
	;; [unrolled: 1-line block ×3, first 2 shown]
	v_bfe_i32 v56, v56, 0, 8
	s_delay_alu instid0(VALU_DEP_4) | instskip(NEXT) | instid1(VALU_DEP_4)
	v_bfe_i32 v57, v57, 0, 8
	v_bfe_i32 v58, v58, 0, 8
	s_delay_alu instid0(VALU_DEP_4) | instskip(NEXT) | instid1(VALU_DEP_4)
	v_bfe_i32 v59, v59, 0, 8
	v_max_i16 v56, v56, 0
	s_delay_alu instid0(VALU_DEP_4) | instskip(NEXT) | instid1(VALU_DEP_4)
	v_max_i16 v57, v57, 0
	v_max_i16 v58, v58, 0
	s_delay_alu instid0(VALU_DEP_4) | instskip(NEXT) | instid1(VALU_DEP_4)
	v_max_i16 v59, v59, 0
	v_and_b32_e32 v56, 0xffff, v56
	s_delay_alu instid0(VALU_DEP_4) | instskip(NEXT) | instid1(VALU_DEP_4)
	v_and_b32_e32 v57, 0xffff, v57
	v_and_b32_e32 v58, 0xffff, v58
	s_delay_alu instid0(VALU_DEP_4)
	v_and_b32_e32 v59, 0xffff, v59
	scratch_store_b128 off, v[56:59], off offset:240
	buffer_load_b32 v64, v64, s[16:19], 0 offen
	scratch_load_b128 v[56:59], off, off offset:256
	s_waitcnt vmcnt(1)
	v_cndmask_b32_e64 v69, 0, v64, s1
	scratch_load_b128 v[64:67], off, off offset:240
	v_lshrrev_b32_e32 v70, 8, v69
	v_lshrrev_b32_e32 v73, 16, v69
	;; [unrolled: 1-line block ×3, first 2 shown]
	s_waitcnt vmcnt(1)
	v_add_nc_u16 v56, v69, v56
	v_add_nc_u16 v57, v70, v57
	;; [unrolled: 1-line block ×4, first 2 shown]
	s_delay_alu instid0(VALU_DEP_4)
	v_bfe_i32 v56, v56, 0, 8
	v_mad_u64_u32 v[69:70], null, s34, 61, v[68:69]
	v_bfe_i32 v57, v57, 0, 8
	v_bfe_i32 v58, v58, 0, 8
	v_bfe_i32 v59, v59, 0, 8
	v_max_i16 v56, v56, 0
	v_add_nc_u32_e32 v70, 64, v53
	v_max_i16 v57, v57, 0
	v_max_i16 v58, v58, 0
	;; [unrolled: 1-line block ×3, first 2 shown]
	v_and_b32_e32 v56, 0xffff, v56
	v_cmp_gt_i32_e64 s1, s33, v70
	v_and_b32_e32 v57, 0xffff, v57
	v_and_b32_e32 v58, 0xffff, v58
	;; [unrolled: 1-line block ×3, first 2 shown]
	v_add_nc_u32_e32 v73, 0x41, v53
	s_and_b32 s2, s1, s0
	s_and_b32 s1, s1, vcc_lo
	v_add_nc_u32_e32 v74, 0x42, v53
	scratch_store_b128 off, v[56:59], off offset:256
	buffer_load_b32 v56, v69, s[16:19], 0 offen
	v_add_nc_u32_e32 v68, 0x43, v53
	v_cmp_gt_i32_e64 s11, s24, v70
	v_cmp_gt_i32_e64 s9, s24, v73
	v_cmp_ge_i32_e64 s10, s24, v73
	v_cmp_gt_i32_e64 s7, s24, v74
	v_cmp_gt_i32_e64 s5, s24, v68
	v_cmp_ge_i32_e64 s6, s24, v68
	v_cmp_ge_i32_e64 s8, s24, v74
	s_waitcnt vmcnt(0)
	v_cndmask_b32_e64 v56, 0, v56, s2
	s_delay_alu instid0(VALU_DEP_1)
	v_lshrrev_b32_e32 v57, 8, v56
	v_lshrrev_b32_e32 v58, 16, v56
	;; [unrolled: 1-line block ×3, first 2 shown]
	v_add_nc_u16 v32, v56, v32
	v_add_nc_u32_e32 v56, s3, v69
	v_add_nc_u16 v33, v57, v33
	v_add_nc_u16 v34, v58, v34
	;; [unrolled: 1-line block ×3, first 2 shown]
	v_bfe_i32 v32, v32, 0, 8
	s_delay_alu instid0(VALU_DEP_4) | instskip(NEXT) | instid1(VALU_DEP_4)
	v_bfe_i32 v33, v33, 0, 8
	v_bfe_i32 v34, v34, 0, 8
	s_delay_alu instid0(VALU_DEP_4) | instskip(NEXT) | instid1(VALU_DEP_4)
	v_bfe_i32 v35, v35, 0, 8
	v_max_i16 v32, v32, 0
	s_delay_alu instid0(VALU_DEP_4) | instskip(NEXT) | instid1(VALU_DEP_4)
	v_max_i16 v33, v33, 0
	v_max_i16 v34, v34, 0
	s_delay_alu instid0(VALU_DEP_4) | instskip(NEXT) | instid1(VALU_DEP_4)
	v_max_i16 v35, v35, 0
	v_and_b32_e32 v32, 0xffff, v32
	s_delay_alu instid0(VALU_DEP_4) | instskip(NEXT) | instid1(VALU_DEP_4)
	v_and_b32_e32 v33, 0xffff, v33
	v_and_b32_e32 v34, 0xffff, v34
	s_delay_alu instid0(VALU_DEP_4)
	v_and_b32_e32 v35, 0xffff, v35
	scratch_store_b128 off, v[32:35], off offset:272
	buffer_load_b32 v32, v56, s[16:19], 0 offen
	s_waitcnt vmcnt(0)
	v_cndmask_b32_e64 v32, 0, v32, s1
	v_cmp_gt_i32_e64 s1, s33, v73
	s_delay_alu instid0(VALU_DEP_2)
	v_lshrrev_b32_e32 v33, 8, v32
	v_lshrrev_b32_e32 v34, 16, v32
	;; [unrolled: 1-line block ×3, first 2 shown]
	v_add_nc_u16 v28, v32, v28
	v_add_nc_u32_e32 v32, s34, v69
	v_add_nc_u16 v29, v33, v29
	v_add_nc_u16 v30, v34, v30
	;; [unrolled: 1-line block ×3, first 2 shown]
	v_bfe_i32 v28, v28, 0, 8
	s_and_b32 s2, s1, s0
	v_bfe_i32 v29, v29, 0, 8
	v_bfe_i32 v30, v30, 0, 8
	;; [unrolled: 1-line block ×3, first 2 shown]
	v_max_i16 v28, v28, 0
	s_and_b32 s1, s1, vcc_lo
	v_max_i16 v29, v29, 0
	v_max_i16 v30, v30, 0
	;; [unrolled: 1-line block ×3, first 2 shown]
	v_and_b32_e32 v28, 0xffff, v28
	s_delay_alu instid0(VALU_DEP_4) | instskip(NEXT) | instid1(VALU_DEP_4)
	v_and_b32_e32 v29, 0xffff, v29
	v_and_b32_e32 v30, 0xffff, v30
	s_delay_alu instid0(VALU_DEP_4) | instskip(SKIP_4) | instid1(VALU_DEP_1)
	v_and_b32_e32 v31, 0xffff, v31
	scratch_store_b128 off, v[28:31], off offset:288
	buffer_load_b32 v28, v32, s[16:19], 0 offen
	s_waitcnt vmcnt(0)
	v_cndmask_b32_e64 v28, 0, v28, s2
	v_lshrrev_b32_e32 v29, 8, v28
	v_lshrrev_b32_e32 v30, 16, v28
	;; [unrolled: 1-line block ×3, first 2 shown]
	v_add_nc_u16 v24, v28, v24
	v_add_nc_u32_e32 v28, s3, v32
	v_add_nc_u16 v25, v29, v25
	v_add_nc_u16 v26, v30, v26
	;; [unrolled: 1-line block ×3, first 2 shown]
	v_bfe_i32 v24, v24, 0, 8
	s_delay_alu instid0(VALU_DEP_4) | instskip(NEXT) | instid1(VALU_DEP_4)
	v_bfe_i32 v25, v25, 0, 8
	v_bfe_i32 v26, v26, 0, 8
	s_delay_alu instid0(VALU_DEP_4) | instskip(NEXT) | instid1(VALU_DEP_4)
	v_bfe_i32 v27, v27, 0, 8
	v_max_i16 v24, v24, 0
	s_delay_alu instid0(VALU_DEP_4) | instskip(NEXT) | instid1(VALU_DEP_4)
	v_max_i16 v25, v25, 0
	v_max_i16 v26, v26, 0
	s_delay_alu instid0(VALU_DEP_4) | instskip(NEXT) | instid1(VALU_DEP_4)
	v_max_i16 v27, v27, 0
	v_and_b32_e32 v24, 0xffff, v24
	s_delay_alu instid0(VALU_DEP_4) | instskip(NEXT) | instid1(VALU_DEP_4)
	v_and_b32_e32 v25, 0xffff, v25
	v_and_b32_e32 v26, 0xffff, v26
	s_delay_alu instid0(VALU_DEP_4)
	v_and_b32_e32 v27, 0xffff, v27
	scratch_store_b128 off, v[24:27], off offset:304
	buffer_load_b32 v24, v28, s[16:19], 0 offen
	s_waitcnt vmcnt(0)
	v_cndmask_b32_e64 v24, 0, v24, s1
	v_cmp_gt_i32_e64 s1, s33, v74
	s_delay_alu instid0(VALU_DEP_2)
	v_lshrrev_b32_e32 v25, 8, v24
	v_lshrrev_b32_e32 v26, 16, v24
	;; [unrolled: 1-line block ×3, first 2 shown]
	v_add_nc_u16 v20, v24, v20
	v_add_nc_u32_e32 v24, s34, v32
	v_add_nc_u16 v21, v25, v21
	v_add_nc_u16 v22, v26, v22
	;; [unrolled: 1-line block ×3, first 2 shown]
	v_bfe_i32 v20, v20, 0, 8
	s_and_b32 s2, s1, s0
	v_bfe_i32 v21, v21, 0, 8
	v_bfe_i32 v22, v22, 0, 8
	;; [unrolled: 1-line block ×3, first 2 shown]
	v_max_i16 v20, v20, 0
	s_and_b32 s1, s1, vcc_lo
	v_max_i16 v21, v21, 0
	v_max_i16 v22, v22, 0
	;; [unrolled: 1-line block ×3, first 2 shown]
	v_and_b32_e32 v20, 0xffff, v20
	s_delay_alu instid0(VALU_DEP_4) | instskip(NEXT) | instid1(VALU_DEP_4)
	v_and_b32_e32 v21, 0xffff, v21
	v_and_b32_e32 v22, 0xffff, v22
	s_delay_alu instid0(VALU_DEP_4)
	v_and_b32_e32 v23, 0xffff, v23
	scratch_store_b128 off, v[20:23], off offset:320
	buffer_load_b32 v20, v24, s[16:19], 0 offen
	s_waitcnt vmcnt(0)
	v_cndmask_b32_e64 v20, 0, v20, s2
	v_cmp_gt_i32_e64 s2, s24, v55
	s_delay_alu instid0(VALU_DEP_2)
	v_lshrrev_b32_e32 v21, 8, v20
	v_lshrrev_b32_e32 v22, 16, v20
	;; [unrolled: 1-line block ×3, first 2 shown]
	v_add_nc_u16 v16, v20, v16
	v_add_nc_u32_e32 v20, s3, v24
	v_add_nc_u16 v17, v21, v17
	v_add_nc_u16 v18, v22, v18
	;; [unrolled: 1-line block ×3, first 2 shown]
	v_bfe_i32 v16, v16, 0, 8
	s_delay_alu instid0(VALU_DEP_4) | instskip(NEXT) | instid1(VALU_DEP_4)
	v_bfe_i32 v17, v17, 0, 8
	v_bfe_i32 v18, v18, 0, 8
	s_delay_alu instid0(VALU_DEP_4) | instskip(NEXT) | instid1(VALU_DEP_4)
	v_bfe_i32 v19, v19, 0, 8
	v_max_i16 v16, v16, 0
	s_delay_alu instid0(VALU_DEP_4) | instskip(NEXT) | instid1(VALU_DEP_4)
	v_max_i16 v17, v17, 0
	v_max_i16 v18, v18, 0
	s_delay_alu instid0(VALU_DEP_4) | instskip(NEXT) | instid1(VALU_DEP_4)
	v_max_i16 v19, v19, 0
	v_and_b32_e32 v16, 0xffff, v16
	s_delay_alu instid0(VALU_DEP_4) | instskip(NEXT) | instid1(VALU_DEP_4)
	v_and_b32_e32 v17, 0xffff, v17
	v_and_b32_e32 v18, 0xffff, v18
	s_delay_alu instid0(VALU_DEP_4)
	v_and_b32_e32 v19, 0xffff, v19
	scratch_store_b128 off, v[16:19], off offset:336
	buffer_load_b32 v16, v20, s[16:19], 0 offen
	s_waitcnt vmcnt(0)
	v_cndmask_b32_e64 v16, 0, v16, s1
	v_cmp_gt_i32_e64 s1, s33, v68
	s_delay_alu instid0(VALU_DEP_2)
	v_lshrrev_b32_e32 v17, 8, v16
	v_lshrrev_b32_e32 v18, 16, v16
	v_lshrrev_b32_e32 v19, 24, v16
	v_add_nc_u16 v12, v16, v12
	v_add_nc_u32_e32 v16, s34, v24
	v_add_nc_u16 v13, v17, v13
	v_add_nc_u16 v14, v18, v14
	;; [unrolled: 1-line block ×3, first 2 shown]
	v_bfe_i32 v12, v12, 0, 8
	s_and_b32 s0, s1, s0
	v_bfe_i32 v13, v13, 0, 8
	v_bfe_i32 v14, v14, 0, 8
	;; [unrolled: 1-line block ×3, first 2 shown]
	v_max_i16 v12, v12, 0
	s_and_b32 vcc_lo, s1, vcc_lo
	v_max_i16 v13, v13, 0
	v_max_i16 v14, v14, 0
	;; [unrolled: 1-line block ×3, first 2 shown]
	v_and_b32_e32 v12, 0xffff, v12
	s_delay_alu instid0(VALU_DEP_4) | instskip(NEXT) | instid1(VALU_DEP_4)
	v_and_b32_e32 v13, 0xffff, v13
	v_and_b32_e32 v14, 0xffff, v14
	s_delay_alu instid0(VALU_DEP_4)
	v_and_b32_e32 v15, 0xffff, v15
	scratch_store_b128 off, v[12:15], off offset:352
	buffer_load_b32 v12, v16, s[16:19], 0 offen
	s_waitcnt vmcnt(0)
	v_cndmask_b32_e64 v12, 0, v12, s0
	v_cmp_gt_i32_e64 s0, s24, v53
	v_mul_lo_u32 v53, v53, s64
	s_delay_alu instid0(VALU_DEP_3)
	v_lshrrev_b32_e32 v13, 8, v12
	v_lshrrev_b32_e32 v14, 16, v12
	v_lshrrev_b32_e32 v15, 24, v12
	v_add_nc_u16 v8, v12, v8
	v_add_nc_u32_e32 v12, s3, v16
	v_add_nc_u16 v9, v13, v9
	v_add_nc_u16 v10, v14, v10
	;; [unrolled: 1-line block ×3, first 2 shown]
	v_bfe_i32 v8, v8, 0, 8
	v_mad_u64_u32 v[68:69], null, v52, s65, v[53:54]
	v_bfe_i32 v9, v9, 0, 8
	v_bfe_i32 v10, v10, 0, 8
	;; [unrolled: 1-line block ×3, first 2 shown]
	v_max_i16 v8, v8, 0
	v_cmp_gt_i32_e64 s3, s24, v71
	v_max_i16 v9, v9, 0
	v_max_i16 v10, v10, 0
	;; [unrolled: 1-line block ×3, first 2 shown]
	v_and_b32_e32 v8, 0xffff, v8
	v_lshlrev_b32_e32 v54, 16, v54
	v_and_b32_e32 v9, 0xffff, v9
	v_and_b32_e32 v10, 0xffff, v10
	;; [unrolled: 1-line block ×3, first 2 shown]
	v_add_nc_u32_e32 v88, s64, v68
	v_lshl_or_b32 v1, v1, 8, v54
	scratch_store_b128 off, v[8:11], off offset:368
	buffer_load_b32 v20, v12, s[16:19], 0 offen
	s_clause 0x2
	scratch_load_b128 v[8:11], off, off offset:256
	scratch_load_b128 v[12:15], off, off offset:272
	;; [unrolled: 1-line block ×3, first 2 shown]
	s_lshl_b32 s16, s65, 6
	s_add_i32 s18, s65, s64
	s_lshl_b32 s17, s64, 6
	s_waitcnt vmcnt(2)
	v_dual_cndmask_b32 v24, 0, v20 :: v_dual_lshlrev_b32 v9, 8, v9
	scratch_load_b128 v[20:23], off, off offset:288
	v_cmp_gt_i32_e32 vcc_lo, s29, v52
	v_add_nc_u32_e32 v52, s16, v68
	v_lshlrev_b32_e32 v10, 16, v10
	v_lshrrev_b32_e32 v25, 8, v24
	v_lshrrev_b32_e32 v28, 16, v24
	;; [unrolled: 1-line block ×3, first 2 shown]
	v_add_nc_u16 v4, v24, v4
	v_add_nc_u32_e32 v69, s64, v52
	v_add_nc_u16 v5, v25, v5
	v_add_nc_u16 v6, v28, v6
	scratch_load_b128 v[28:31], off, off offset:320
	v_add_nc_u16 v7, v32, v7
	v_bfe_i32 v4, v4, 0, 8
	v_bfe_i32 v5, v5, 0, 8
	;; [unrolled: 1-line block ×3, first 2 shown]
	scratch_load_b128 v[24:27], off, off offset:336
	v_bfe_i32 v32, v7, 0, 8
	v_max_i16 v56, v4, 0
	v_max_i16 v57, v5, 0
	;; [unrolled: 1-line block ×3, first 2 shown]
	scratch_load_b128 v[4:7], off, off offset:368
	v_max_i16 v59, v32, 0
	v_and_b32_e32 v56, 0xffff, v56
	v_and_b32_e32 v57, 0xffff, v57
	;; [unrolled: 1-line block ×3, first 2 shown]
	scratch_load_b128 v[32:35], off, off offset:352
	v_and_b32_e32 v59, 0xffff, v59
	s_and_b32 s1, s0, vcc_lo
	v_add_nc_u32_e32 v72, s64, v69
	v_cndmask_b32_e64 v75, 0x80000000, 0, s1
	v_cmp_gt_i32_e64 s1, s29, v2
	scratch_store_b128 off, v[56:59], off offset:384
	scratch_load_b128 v[56:59], off, off offset:384
	v_add_nc_u32_e32 v76, s64, v72
	v_lshlrev_b32_e32 v11, 24, v11
	s_and_b32 s0, s0, s1
	v_perm_b32 v8, v9, v8, 0xc0c0500
	v_cndmask_b32_e64 v2, 0x80000000, 0, s0
	s_and_b32 s0, s2, s1
	v_subrev_nc_u32_e32 v79, s16, v76
	v_and_b32_e32 v9, 0xff0000, v10
	s_waitcnt vmcnt(7)
	v_lshlrev_b32_e32 v13, 8, v13
	v_lshlrev_b32_e32 v14, 16, v14
	v_cndmask_b32_e64 v53, 0x80000000, 0, s0
	s_and_b32 s0, s2, vcc_lo
	v_lshl_add_u32 v82, s18, 6, v79
	v_cndmask_b32_e64 v55, 0x80000000, 0, s0
	s_and_b32 s0, s3, vcc_lo
	v_or3_b32 v8, v8, v9, v11
	v_cndmask_b32_e64 v70, 0x80000000, 0, s0
	s_and_b32 s0, s3, s1
	v_perm_b32 v11, v13, v12, 0xc0c0500
	v_and_b32_e32 v12, 0xff0000, v14
	s_waitcnt vmcnt(6)
	v_lshlrev_b32_e32 v13, 8, v17
	v_lshlrev_b32_e32 v14, 16, v18
	v_cndmask_b32_e64 v71, 0x80000000, 0, s0
	s_and_b32 s0, s4, s1
	v_lshlrev_b32_e32 v3, 24, v3
	v_cndmask_b32_e64 v73, 0x80000000, 0, s0
	s_and_b32 s0, s4, vcc_lo
	v_subrev_nc_u32_e32 v85, s64, v82
	v_lshlrev_b32_e32 v9, 24, v15
	v_lshlrev_b32_e32 v15, 24, v19
	v_perm_b32 v13, v13, v16, 0xc0c0500
	v_and_b32_e32 v14, 0xff0000, v14
	v_cndmask_b32_e64 v74, 0x80000000, 0, s0
	s_and_b32 s0, s5, vcc_lo
	v_or3_b32 v0, v3, v1, v0
	v_or3_b32 v1, v36, v37, v39
	v_lshlrev_b32_e32 v3, 24, v43
	v_perm_b32 v36, v41, v40, 0xc0c0500
	v_and_b32_e32 v37, 0xff0000, v42
	v_lshlrev_b32_e32 v39, 8, v45
	v_lshlrev_b32_e32 v40, 16, v46
	;; [unrolled: 1-line block ×4, first 2 shown]
	v_cndmask_b32_e64 v77, 0x80000000, 0, s0
	s_and_b32 s0, s5, s1
	v_subrev_nc_u32_e32 v89, s16, v85
	v_cndmask_b32_e64 v78, 0x80000000, 0, s0
	s_and_b32 s0, s6, s1
	v_or3_b32 v13, v13, v14, v15
	v_cndmask_b32_e64 v80, 0x80000000, 0, s0
	s_and_b32 s0, s7, vcc_lo
	v_lshlrev_b32_e32 v41, 24, v47
	v_perm_b32 v39, v39, v44, 0xc0c0500
	v_and_b32_e32 v40, 0xff0000, v40
	v_lshlrev_b32_e32 v44, 24, v51
	v_perm_b32 v42, v42, v48, 0xc0c0500
	v_and_b32_e32 v43, 0xff0000, v43
	v_cndmask_b32_e64 v81, 0x80000000, 0, s0
	s_and_b32 s0, s8, vcc_lo
	v_add_nc_u32_e32 v2, v2, v52
	v_add_nc_u32_e32 v52, v88, v55
	v_subrev_nc_u32_e32 v55, s64, v89
	v_or3_b32 v3, v36, v37, v3
	v_lshlrev_b32_e32 v36, 8, v61
	v_lshlrev_b32_e32 v37, 16, v62
	v_or3_b32 v9, v11, v12, v9
	v_cndmask_b32_e64 v83, 0x80000000, 0, s0
	s_and_b32 s0, s9, s1
	v_or3_b32 v39, v39, v40, v41
	v_or3_b32 v40, v42, v43, v44
	v_lshlrev_b32_e32 v42, 8, v65
	v_lshlrev_b32_e32 v43, 16, v66
	v_cndmask_b32_e64 v84, 0x80000000, 0, s0
	s_and_b32 s0, s11, vcc_lo
	v_add_nc_u32_e32 v68, v75, v68
	v_cndmask_b32_e64 v86, 0x80000000, 0, s0
	v_add_nc_u32_e32 v53, v53, v69
	v_add_nc_u32_e32 v69, v72, v71
	;; [unrolled: 1-line block ×3, first 2 shown]
	v_lshlrev_b32_e32 v41, 24, v63
	v_perm_b32 v36, v36, v60, 0xc0c0500
	v_and_b32_e32 v37, 0xff0000, v37
	v_lshlrev_b32_e32 v44, 24, v67
	v_perm_b32 v42, v42, v64, 0xc0c0500
	v_and_b32_e32 v43, 0xff0000, v43
	s_and_b32 s0, s10, s1
	buffer_store_b32 v0, v68, s[12:15], 0 offen
	v_cndmask_b32_e64 v87, 0x80000000, 0, s0
	v_subrev_nc_u32_e32 v86, s16, v86
	v_add_nc_u32_e32 v71, v76, v73
	v_add_nc_u32_e32 v73, v79, v74
	v_add3_u32 v74, v77, s17, v79
	v_subrev_nc_u32_e32 v77, s64, v72
	v_or3_b32 v10, v36, v37, v41
	v_or3_b32 v36, v42, v43, v44
	v_add3_u32 v70, v70, s64, v88
	v_add_nc_u32_e32 v75, v82, v78
	v_add_nc_u32_e32 v76, v85, v80
	;; [unrolled: 1-line block ×7, first 2 shown]
	s_clause 0x3
	buffer_store_b32 v1, v2, s[12:15], 0 offen
	buffer_store_b32 v39, v53, s[12:15], 0 offen
	;; [unrolled: 1-line block ×4, first 2 shown]
	s_waitcnt vmcnt(5)
	v_lshlrev_b32_e32 v17, 8, v21
	v_lshlrev_b32_e32 v18, 16, v22
	;; [unrolled: 1-line block ×3, first 2 shown]
	s_delay_alu instid0(VALU_DEP_3) | instskip(NEXT) | instid1(VALU_DEP_3)
	v_perm_b32 v12, v17, v20, 0xc0c0500
	v_and_b32_e32 v16, 0xff0000, v18
	s_waitcnt vmcnt(4)
	v_lshlrev_b32_e32 v18, 8, v29
	v_lshlrev_b32_e32 v19, 16, v30
	s_delay_alu instid0(VALU_DEP_3)
	v_or3_b32 v11, v12, v16, v11
	v_lshlrev_b32_e32 v12, 24, v31
	s_waitcnt vmcnt(3)
	v_lshlrev_b32_e32 v14, 8, v25
	v_lshlrev_b32_e32 v15, 16, v26
	;; [unrolled: 1-line block ×3, first 2 shown]
	v_perm_b32 v16, v18, v28, 0xc0c0500
	v_and_b32_e32 v18, 0xff0000, v19
	s_waitcnt vmcnt(2)
	v_lshlrev_b32_e32 v5, 8, v5
	v_lshlrev_b32_e32 v6, 16, v6
	;; [unrolled: 1-line block ×3, first 2 shown]
	v_perm_b32 v14, v14, v24, 0xc0c0500
	v_and_b32_e32 v15, 0xff0000, v15
	v_perm_b32 v4, v5, v4, 0xc0c0500
	v_and_b32_e32 v5, 0xff0000, v6
	s_waitcnt vmcnt(1)
	v_lshlrev_b32_e32 v6, 24, v35
	v_or3_b32 v12, v16, v18, v12
	v_or3_b32 v14, v14, v15, v17
	v_lshlrev_b32_e32 v15, 8, v33
	v_or3_b32 v4, v4, v5, v7
	s_waitcnt vmcnt(0)
	v_lshlrev_b32_e32 v5, 8, v57
	v_lshlrev_b32_e32 v7, 16, v58
	v_lshlrev_b32_e32 v17, 16, v34
	v_lshlrev_b32_e32 v0, 24, v59
	v_perm_b32 v15, v15, v32, 0xc0c0500
	v_perm_b32 v5, v5, v56, 0xc0c0500
	v_and_b32_e32 v7, 0xff0000, v7
	v_and_b32_e32 v17, 0xff0000, v17
	s_delay_alu instid0(VALU_DEP_2) | instskip(NEXT) | instid1(VALU_DEP_2)
	v_or3_b32 v0, v5, v7, v0
	v_or3_b32 v6, v15, v17, v6
	s_clause 0xa
	buffer_store_b32 v10, v69, s[12:15], 0 offen
	buffer_store_b32 v8, v71, s[12:15], 0 offen
	;; [unrolled: 1-line block ×11, first 2 shown]
	s_endpgm
	.section	.rodata,"a",@progbits
	.p2align	6, 0x0
	.amdhsa_kernel _ZN2ck16tensor_operation6device12_GLOBAL__N_137kernel_grouped_conv_fwd_dl_multiple_dINS_32GridwiseGemmDlMultipleD_km_kn_mnILi256EaiNS_5TupleIJaEEEaNS0_12element_wise11PassThroughES8_NS7_7AddReluELNS_25InMemoryDataOperationEnumE0ENS_16TensorDescriptorINS5_IJNS_5EmbedINS5_IJiiiiiEEESD_Lb0EEENS_11PassThroughIiEENS_3PadIiiiLb0EEESI_SI_SG_SG_NSC_INS5_IJiiEEESJ_Lb0EEESK_SK_SG_NS_23Merge_v2_magic_divisionINS5_IJiiiiEEEEESN_NS_8RightPadIiiLb0EEESP_NS_7UnMergeISJ_Lb0EEESG_EEENS5_IJNS_8SequenceIJLi0EEEENST_IJLi1EEEENST_IJLi2EEEENST_IJLi3EEEENST_IJLi4EEEENST_IJLi5EEEENST_IJLi6EEEENST_IJLi7EEEENST_IJLi8EEEENST_IJLi9EEEENST_IJLi10EEEENST_IJLi11ELi13ELi15ELi17EEEENST_IJLi12ELi14ELi16ELi18EEEENST_IJLi19EEEENST_IJLi20EEEENST_IJLi22EEEENST_IJLi21EEEEEEENS5_IJNST_IJLi1ELi2ELi3ELi4ELi5EEEES10_S11_S12_S13_S14_NST_IJLi11EEEENST_IJLi12ELi13EEEENST_IJLi14ELi15EEEENST_IJLi16ELi17EEEENST_IJLi18EEEES17_S18_S1A_S19_NST_IJLi23ELi24EEEENST_IJLi25EEEEEEENST_IJLi23ELi25ELi24EEEElEENSB_INS5_IJSR_SP_SP_SR_SG_EEENS5_IJSU_SV_SW_SY_SX_EEENS5_IJNST_IJLi1ELi2EEEESX_SY_NST_IJLi5ELi6EEEES11_EEENST_IJLi5ELi7ELi6EEEElEENSB_INS5_IJSK_SP_SP_EEENS5_IJSU_SV_SW_EEENS5_IJS1P_SX_SY_EEENST_IJLi3ELi4EEEElEELi128ELi128ELi16ELi4ELi4ELi4ELi1ENST_IJLi8ELi2EEEES1Z_NST_IJLi8ELi1ELi1ELi4EEEENST_IJLi2ELi1ELi128ELi1EEEENST_IJLi1ELi2ELi0ELi3EEEES22_NST_IJLi4ELi1ELi1ELi4EEEES22_NST_IJLi1ELi1ELi1ELi4EEEES20_S21_S22_S22_S23_S22_S24_NST_IJLi0ELi1ELi2ELi3ELi4ELi5EEEELi5ELi4EEEaNS5_IJPKaEEEaS8_S8_S9_NSB_INS5_IJSE_SG_SI_SI_SI_SG_SG_SK_SK_SK_SG_SN_SN_SP_SP_SR_SG_SG_NSQ_INS5_IJiNS_17integral_constantIiLi128EEEEEELb0EEENSF_INS2A_IiLi4EEEEEEEENS5_IJSU_SV_SW_SX_SY_SZ_S10_S11_S12_S13_S14_S15_S16_S17_S18_S19_S1A_NST_IJLi23EEEES1J_NST_IJLi24EEEEEEENS5_IJS1C_S10_S11_S12_S13_S14_S1D_S1E_S1F_S1G_S1H_S17_S18_S1A_S19_S1I_S1J_NST_IJLi26EEEENST_IJLi27ELi28EEEENST_IJLi29EEEEEEENST_IJLi26ELi27ELi28ELi29EEEElEENSB_INS5_IJSR_SP_SP_SR_SG_SG_S2D_S2F_EEENS5_IJSU_SV_SW_SY_SX_SZ_S11_S10_EEENS5_IJS1P_SX_SY_S1Q_S11_S12_NST_IJLi9ELi10EEEES1D_EEENST_IJLi8ELi9ELi10ELi11EEEElEENS5_IJNSB_INS5_IJSK_SP_SP_NSQ_INS5_IJiNS2A_IiLi2EEENS2A_IiLi64EEEEEELb0EEES2Z_EEENS5_IJSU_SV_SW_SX_SY_EEENS5_IJS1P_SX_SY_NST_IJLi5ELi6ELi7EEEENST_IJLi8ELi9ELi10EEEEEEENST_IJLi5ELi6ELi7ELi8ELi9ELi10EEEElEEEEES36_NS_31BlockToCTileMap_M00_N00_M01_N01ILi128ELi128ES1Y_Lb0EEENS1_30ComputePtrOffsetOfStridedBatchILi1ELi1ELi1EvEELb1ELb0EEEvPKT0_S3E_T1_PT2_T3_T4_T5_iT6_T7_T8_T9_T10_T11_
		.amdhsa_group_segment_fixed_size 32768
		.amdhsa_private_segment_fixed_size 480
		.amdhsa_kernarg_size 1024
		.amdhsa_user_sgpr_count 15
		.amdhsa_user_sgpr_dispatch_ptr 0
		.amdhsa_user_sgpr_queue_ptr 0
		.amdhsa_user_sgpr_kernarg_segment_ptr 1
		.amdhsa_user_sgpr_dispatch_id 0
		.amdhsa_user_sgpr_private_segment_size 0
		.amdhsa_wavefront_size32 1
		.amdhsa_uses_dynamic_stack 0
		.amdhsa_enable_private_segment 1
		.amdhsa_system_sgpr_workgroup_id_x 1
		.amdhsa_system_sgpr_workgroup_id_y 0
		.amdhsa_system_sgpr_workgroup_id_z 0
		.amdhsa_system_sgpr_workgroup_info 0
		.amdhsa_system_vgpr_workitem_id 0
		.amdhsa_next_free_vgpr 113
		.amdhsa_next_free_sgpr 97
		.amdhsa_reserve_vcc 1
		.amdhsa_float_round_mode_32 0
		.amdhsa_float_round_mode_16_64 0
		.amdhsa_float_denorm_mode_32 3
		.amdhsa_float_denorm_mode_16_64 3
		.amdhsa_dx10_clamp 1
		.amdhsa_ieee_mode 1
		.amdhsa_fp16_overflow 0
		.amdhsa_workgroup_processor_mode 1
		.amdhsa_memory_ordered 1
		.amdhsa_forward_progress 0
		.amdhsa_shared_vgpr_count 0
		.amdhsa_exception_fp_ieee_invalid_op 0
		.amdhsa_exception_fp_denorm_src 0
		.amdhsa_exception_fp_ieee_div_zero 0
		.amdhsa_exception_fp_ieee_overflow 0
		.amdhsa_exception_fp_ieee_underflow 0
		.amdhsa_exception_fp_ieee_inexact 0
		.amdhsa_exception_int_div_zero 0
	.end_amdhsa_kernel
	.section	.text._ZN2ck16tensor_operation6device12_GLOBAL__N_137kernel_grouped_conv_fwd_dl_multiple_dINS_32GridwiseGemmDlMultipleD_km_kn_mnILi256EaiNS_5TupleIJaEEEaNS0_12element_wise11PassThroughES8_NS7_7AddReluELNS_25InMemoryDataOperationEnumE0ENS_16TensorDescriptorINS5_IJNS_5EmbedINS5_IJiiiiiEEESD_Lb0EEENS_11PassThroughIiEENS_3PadIiiiLb0EEESI_SI_SG_SG_NSC_INS5_IJiiEEESJ_Lb0EEESK_SK_SG_NS_23Merge_v2_magic_divisionINS5_IJiiiiEEEEESN_NS_8RightPadIiiLb0EEESP_NS_7UnMergeISJ_Lb0EEESG_EEENS5_IJNS_8SequenceIJLi0EEEENST_IJLi1EEEENST_IJLi2EEEENST_IJLi3EEEENST_IJLi4EEEENST_IJLi5EEEENST_IJLi6EEEENST_IJLi7EEEENST_IJLi8EEEENST_IJLi9EEEENST_IJLi10EEEENST_IJLi11ELi13ELi15ELi17EEEENST_IJLi12ELi14ELi16ELi18EEEENST_IJLi19EEEENST_IJLi20EEEENST_IJLi22EEEENST_IJLi21EEEEEEENS5_IJNST_IJLi1ELi2ELi3ELi4ELi5EEEES10_S11_S12_S13_S14_NST_IJLi11EEEENST_IJLi12ELi13EEEENST_IJLi14ELi15EEEENST_IJLi16ELi17EEEENST_IJLi18EEEES17_S18_S1A_S19_NST_IJLi23ELi24EEEENST_IJLi25EEEEEEENST_IJLi23ELi25ELi24EEEElEENSB_INS5_IJSR_SP_SP_SR_SG_EEENS5_IJSU_SV_SW_SY_SX_EEENS5_IJNST_IJLi1ELi2EEEESX_SY_NST_IJLi5ELi6EEEES11_EEENST_IJLi5ELi7ELi6EEEElEENSB_INS5_IJSK_SP_SP_EEENS5_IJSU_SV_SW_EEENS5_IJS1P_SX_SY_EEENST_IJLi3ELi4EEEElEELi128ELi128ELi16ELi4ELi4ELi4ELi1ENST_IJLi8ELi2EEEES1Z_NST_IJLi8ELi1ELi1ELi4EEEENST_IJLi2ELi1ELi128ELi1EEEENST_IJLi1ELi2ELi0ELi3EEEES22_NST_IJLi4ELi1ELi1ELi4EEEES22_NST_IJLi1ELi1ELi1ELi4EEEES20_S21_S22_S22_S23_S22_S24_NST_IJLi0ELi1ELi2ELi3ELi4ELi5EEEELi5ELi4EEEaNS5_IJPKaEEEaS8_S8_S9_NSB_INS5_IJSE_SG_SI_SI_SI_SG_SG_SK_SK_SK_SG_SN_SN_SP_SP_SR_SG_SG_NSQ_INS5_IJiNS_17integral_constantIiLi128EEEEEELb0EEENSF_INS2A_IiLi4EEEEEEEENS5_IJSU_SV_SW_SX_SY_SZ_S10_S11_S12_S13_S14_S15_S16_S17_S18_S19_S1A_NST_IJLi23EEEES1J_NST_IJLi24EEEEEEENS5_IJS1C_S10_S11_S12_S13_S14_S1D_S1E_S1F_S1G_S1H_S17_S18_S1A_S19_S1I_S1J_NST_IJLi26EEEENST_IJLi27ELi28EEEENST_IJLi29EEEEEEENST_IJLi26ELi27ELi28ELi29EEEElEENSB_INS5_IJSR_SP_SP_SR_SG_SG_S2D_S2F_EEENS5_IJSU_SV_SW_SY_SX_SZ_S11_S10_EEENS5_IJS1P_SX_SY_S1Q_S11_S12_NST_IJLi9ELi10EEEES1D_EEENST_IJLi8ELi9ELi10ELi11EEEElEENS5_IJNSB_INS5_IJSK_SP_SP_NSQ_INS5_IJiNS2A_IiLi2EEENS2A_IiLi64EEEEEELb0EEES2Z_EEENS5_IJSU_SV_SW_SX_SY_EEENS5_IJS1P_SX_SY_NST_IJLi5ELi6ELi7EEEENST_IJLi8ELi9ELi10EEEEEEENST_IJLi5ELi6ELi7ELi8ELi9ELi10EEEElEEEEES36_NS_31BlockToCTileMap_M00_N00_M01_N01ILi128ELi128ES1Y_Lb0EEENS1_30ComputePtrOffsetOfStridedBatchILi1ELi1ELi1EvEELb1ELb0EEEvPKT0_S3E_T1_PT2_T3_T4_T5_iT6_T7_T8_T9_T10_T11_,"axG",@progbits,_ZN2ck16tensor_operation6device12_GLOBAL__N_137kernel_grouped_conv_fwd_dl_multiple_dINS_32GridwiseGemmDlMultipleD_km_kn_mnILi256EaiNS_5TupleIJaEEEaNS0_12element_wise11PassThroughES8_NS7_7AddReluELNS_25InMemoryDataOperationEnumE0ENS_16TensorDescriptorINS5_IJNS_5EmbedINS5_IJiiiiiEEESD_Lb0EEENS_11PassThroughIiEENS_3PadIiiiLb0EEESI_SI_SG_SG_NSC_INS5_IJiiEEESJ_Lb0EEESK_SK_SG_NS_23Merge_v2_magic_divisionINS5_IJiiiiEEEEESN_NS_8RightPadIiiLb0EEESP_NS_7UnMergeISJ_Lb0EEESG_EEENS5_IJNS_8SequenceIJLi0EEEENST_IJLi1EEEENST_IJLi2EEEENST_IJLi3EEEENST_IJLi4EEEENST_IJLi5EEEENST_IJLi6EEEENST_IJLi7EEEENST_IJLi8EEEENST_IJLi9EEEENST_IJLi10EEEENST_IJLi11ELi13ELi15ELi17EEEENST_IJLi12ELi14ELi16ELi18EEEENST_IJLi19EEEENST_IJLi20EEEENST_IJLi22EEEENST_IJLi21EEEEEEENS5_IJNST_IJLi1ELi2ELi3ELi4ELi5EEEES10_S11_S12_S13_S14_NST_IJLi11EEEENST_IJLi12ELi13EEEENST_IJLi14ELi15EEEENST_IJLi16ELi17EEEENST_IJLi18EEEES17_S18_S1A_S19_NST_IJLi23ELi24EEEENST_IJLi25EEEEEEENST_IJLi23ELi25ELi24EEEElEENSB_INS5_IJSR_SP_SP_SR_SG_EEENS5_IJSU_SV_SW_SY_SX_EEENS5_IJNST_IJLi1ELi2EEEESX_SY_NST_IJLi5ELi6EEEES11_EEENST_IJLi5ELi7ELi6EEEElEENSB_INS5_IJSK_SP_SP_EEENS5_IJSU_SV_SW_EEENS5_IJS1P_SX_SY_EEENST_IJLi3ELi4EEEElEELi128ELi128ELi16ELi4ELi4ELi4ELi1ENST_IJLi8ELi2EEEES1Z_NST_IJLi8ELi1ELi1ELi4EEEENST_IJLi2ELi1ELi128ELi1EEEENST_IJLi1ELi2ELi0ELi3EEEES22_NST_IJLi4ELi1ELi1ELi4EEEES22_NST_IJLi1ELi1ELi1ELi4EEEES20_S21_S22_S22_S23_S22_S24_NST_IJLi0ELi1ELi2ELi3ELi4ELi5EEEELi5ELi4EEEaNS5_IJPKaEEEaS8_S8_S9_NSB_INS5_IJSE_SG_SI_SI_SI_SG_SG_SK_SK_SK_SG_SN_SN_SP_SP_SR_SG_SG_NSQ_INS5_IJiNS_17integral_constantIiLi128EEEEEELb0EEENSF_INS2A_IiLi4EEEEEEEENS5_IJSU_SV_SW_SX_SY_SZ_S10_S11_S12_S13_S14_S15_S16_S17_S18_S19_S1A_NST_IJLi23EEEES1J_NST_IJLi24EEEEEEENS5_IJS1C_S10_S11_S12_S13_S14_S1D_S1E_S1F_S1G_S1H_S17_S18_S1A_S19_S1I_S1J_NST_IJLi26EEEENST_IJLi27ELi28EEEENST_IJLi29EEEEEEENST_IJLi26ELi27ELi28ELi29EEEElEENSB_INS5_IJSR_SP_SP_SR_SG_SG_S2D_S2F_EEENS5_IJSU_SV_SW_SY_SX_SZ_S11_S10_EEENS5_IJS1P_SX_SY_S1Q_S11_S12_NST_IJLi9ELi10EEEES1D_EEENST_IJLi8ELi9ELi10ELi11EEEElEENS5_IJNSB_INS5_IJSK_SP_SP_NSQ_INS5_IJiNS2A_IiLi2EEENS2A_IiLi64EEEEEELb0EEES2Z_EEENS5_IJSU_SV_SW_SX_SY_EEENS5_IJS1P_SX_SY_NST_IJLi5ELi6ELi7EEEENST_IJLi8ELi9ELi10EEEEEEENST_IJLi5ELi6ELi7ELi8ELi9ELi10EEEElEEEEES36_NS_31BlockToCTileMap_M00_N00_M01_N01ILi128ELi128ES1Y_Lb0EEENS1_30ComputePtrOffsetOfStridedBatchILi1ELi1ELi1EvEELb1ELb0EEEvPKT0_S3E_T1_PT2_T3_T4_T5_iT6_T7_T8_T9_T10_T11_,comdat
.Lfunc_end11:
	.size	_ZN2ck16tensor_operation6device12_GLOBAL__N_137kernel_grouped_conv_fwd_dl_multiple_dINS_32GridwiseGemmDlMultipleD_km_kn_mnILi256EaiNS_5TupleIJaEEEaNS0_12element_wise11PassThroughES8_NS7_7AddReluELNS_25InMemoryDataOperationEnumE0ENS_16TensorDescriptorINS5_IJNS_5EmbedINS5_IJiiiiiEEESD_Lb0EEENS_11PassThroughIiEENS_3PadIiiiLb0EEESI_SI_SG_SG_NSC_INS5_IJiiEEESJ_Lb0EEESK_SK_SG_NS_23Merge_v2_magic_divisionINS5_IJiiiiEEEEESN_NS_8RightPadIiiLb0EEESP_NS_7UnMergeISJ_Lb0EEESG_EEENS5_IJNS_8SequenceIJLi0EEEENST_IJLi1EEEENST_IJLi2EEEENST_IJLi3EEEENST_IJLi4EEEENST_IJLi5EEEENST_IJLi6EEEENST_IJLi7EEEENST_IJLi8EEEENST_IJLi9EEEENST_IJLi10EEEENST_IJLi11ELi13ELi15ELi17EEEENST_IJLi12ELi14ELi16ELi18EEEENST_IJLi19EEEENST_IJLi20EEEENST_IJLi22EEEENST_IJLi21EEEEEEENS5_IJNST_IJLi1ELi2ELi3ELi4ELi5EEEES10_S11_S12_S13_S14_NST_IJLi11EEEENST_IJLi12ELi13EEEENST_IJLi14ELi15EEEENST_IJLi16ELi17EEEENST_IJLi18EEEES17_S18_S1A_S19_NST_IJLi23ELi24EEEENST_IJLi25EEEEEEENST_IJLi23ELi25ELi24EEEElEENSB_INS5_IJSR_SP_SP_SR_SG_EEENS5_IJSU_SV_SW_SY_SX_EEENS5_IJNST_IJLi1ELi2EEEESX_SY_NST_IJLi5ELi6EEEES11_EEENST_IJLi5ELi7ELi6EEEElEENSB_INS5_IJSK_SP_SP_EEENS5_IJSU_SV_SW_EEENS5_IJS1P_SX_SY_EEENST_IJLi3ELi4EEEElEELi128ELi128ELi16ELi4ELi4ELi4ELi1ENST_IJLi8ELi2EEEES1Z_NST_IJLi8ELi1ELi1ELi4EEEENST_IJLi2ELi1ELi128ELi1EEEENST_IJLi1ELi2ELi0ELi3EEEES22_NST_IJLi4ELi1ELi1ELi4EEEES22_NST_IJLi1ELi1ELi1ELi4EEEES20_S21_S22_S22_S23_S22_S24_NST_IJLi0ELi1ELi2ELi3ELi4ELi5EEEELi5ELi4EEEaNS5_IJPKaEEEaS8_S8_S9_NSB_INS5_IJSE_SG_SI_SI_SI_SG_SG_SK_SK_SK_SG_SN_SN_SP_SP_SR_SG_SG_NSQ_INS5_IJiNS_17integral_constantIiLi128EEEEEELb0EEENSF_INS2A_IiLi4EEEEEEEENS5_IJSU_SV_SW_SX_SY_SZ_S10_S11_S12_S13_S14_S15_S16_S17_S18_S19_S1A_NST_IJLi23EEEES1J_NST_IJLi24EEEEEEENS5_IJS1C_S10_S11_S12_S13_S14_S1D_S1E_S1F_S1G_S1H_S17_S18_S1A_S19_S1I_S1J_NST_IJLi26EEEENST_IJLi27ELi28EEEENST_IJLi29EEEEEEENST_IJLi26ELi27ELi28ELi29EEEElEENSB_INS5_IJSR_SP_SP_SR_SG_SG_S2D_S2F_EEENS5_IJSU_SV_SW_SY_SX_SZ_S11_S10_EEENS5_IJS1P_SX_SY_S1Q_S11_S12_NST_IJLi9ELi10EEEES1D_EEENST_IJLi8ELi9ELi10ELi11EEEElEENS5_IJNSB_INS5_IJSK_SP_SP_NSQ_INS5_IJiNS2A_IiLi2EEENS2A_IiLi64EEEEEELb0EEES2Z_EEENS5_IJSU_SV_SW_SX_SY_EEENS5_IJS1P_SX_SY_NST_IJLi5ELi6ELi7EEEENST_IJLi8ELi9ELi10EEEEEEENST_IJLi5ELi6ELi7ELi8ELi9ELi10EEEElEEEEES36_NS_31BlockToCTileMap_M00_N00_M01_N01ILi128ELi128ES1Y_Lb0EEENS1_30ComputePtrOffsetOfStridedBatchILi1ELi1ELi1EvEELb1ELb0EEEvPKT0_S3E_T1_PT2_T3_T4_T5_iT6_T7_T8_T9_T10_T11_, .Lfunc_end11-_ZN2ck16tensor_operation6device12_GLOBAL__N_137kernel_grouped_conv_fwd_dl_multiple_dINS_32GridwiseGemmDlMultipleD_km_kn_mnILi256EaiNS_5TupleIJaEEEaNS0_12element_wise11PassThroughES8_NS7_7AddReluELNS_25InMemoryDataOperationEnumE0ENS_16TensorDescriptorINS5_IJNS_5EmbedINS5_IJiiiiiEEESD_Lb0EEENS_11PassThroughIiEENS_3PadIiiiLb0EEESI_SI_SG_SG_NSC_INS5_IJiiEEESJ_Lb0EEESK_SK_SG_NS_23Merge_v2_magic_divisionINS5_IJiiiiEEEEESN_NS_8RightPadIiiLb0EEESP_NS_7UnMergeISJ_Lb0EEESG_EEENS5_IJNS_8SequenceIJLi0EEEENST_IJLi1EEEENST_IJLi2EEEENST_IJLi3EEEENST_IJLi4EEEENST_IJLi5EEEENST_IJLi6EEEENST_IJLi7EEEENST_IJLi8EEEENST_IJLi9EEEENST_IJLi10EEEENST_IJLi11ELi13ELi15ELi17EEEENST_IJLi12ELi14ELi16ELi18EEEENST_IJLi19EEEENST_IJLi20EEEENST_IJLi22EEEENST_IJLi21EEEEEEENS5_IJNST_IJLi1ELi2ELi3ELi4ELi5EEEES10_S11_S12_S13_S14_NST_IJLi11EEEENST_IJLi12ELi13EEEENST_IJLi14ELi15EEEENST_IJLi16ELi17EEEENST_IJLi18EEEES17_S18_S1A_S19_NST_IJLi23ELi24EEEENST_IJLi25EEEEEEENST_IJLi23ELi25ELi24EEEElEENSB_INS5_IJSR_SP_SP_SR_SG_EEENS5_IJSU_SV_SW_SY_SX_EEENS5_IJNST_IJLi1ELi2EEEESX_SY_NST_IJLi5ELi6EEEES11_EEENST_IJLi5ELi7ELi6EEEElEENSB_INS5_IJSK_SP_SP_EEENS5_IJSU_SV_SW_EEENS5_IJS1P_SX_SY_EEENST_IJLi3ELi4EEEElEELi128ELi128ELi16ELi4ELi4ELi4ELi1ENST_IJLi8ELi2EEEES1Z_NST_IJLi8ELi1ELi1ELi4EEEENST_IJLi2ELi1ELi128ELi1EEEENST_IJLi1ELi2ELi0ELi3EEEES22_NST_IJLi4ELi1ELi1ELi4EEEES22_NST_IJLi1ELi1ELi1ELi4EEEES20_S21_S22_S22_S23_S22_S24_NST_IJLi0ELi1ELi2ELi3ELi4ELi5EEEELi5ELi4EEEaNS5_IJPKaEEEaS8_S8_S9_NSB_INS5_IJSE_SG_SI_SI_SI_SG_SG_SK_SK_SK_SG_SN_SN_SP_SP_SR_SG_SG_NSQ_INS5_IJiNS_17integral_constantIiLi128EEEEEELb0EEENSF_INS2A_IiLi4EEEEEEEENS5_IJSU_SV_SW_SX_SY_SZ_S10_S11_S12_S13_S14_S15_S16_S17_S18_S19_S1A_NST_IJLi23EEEES1J_NST_IJLi24EEEEEEENS5_IJS1C_S10_S11_S12_S13_S14_S1D_S1E_S1F_S1G_S1H_S17_S18_S1A_S19_S1I_S1J_NST_IJLi26EEEENST_IJLi27ELi28EEEENST_IJLi29EEEEEEENST_IJLi26ELi27ELi28ELi29EEEElEENSB_INS5_IJSR_SP_SP_SR_SG_SG_S2D_S2F_EEENS5_IJSU_SV_SW_SY_SX_SZ_S11_S10_EEENS5_IJS1P_SX_SY_S1Q_S11_S12_NST_IJLi9ELi10EEEES1D_EEENST_IJLi8ELi9ELi10ELi11EEEElEENS5_IJNSB_INS5_IJSK_SP_SP_NSQ_INS5_IJiNS2A_IiLi2EEENS2A_IiLi64EEEEEELb0EEES2Z_EEENS5_IJSU_SV_SW_SX_SY_EEENS5_IJS1P_SX_SY_NST_IJLi5ELi6ELi7EEEENST_IJLi8ELi9ELi10EEEEEEENST_IJLi5ELi6ELi7ELi8ELi9ELi10EEEElEEEEES36_NS_31BlockToCTileMap_M00_N00_M01_N01ILi128ELi128ES1Y_Lb0EEENS1_30ComputePtrOffsetOfStridedBatchILi1ELi1ELi1EvEELb1ELb0EEEvPKT0_S3E_T1_PT2_T3_T4_T5_iT6_T7_T8_T9_T10_T11_
                                        ; -- End function
	.section	.AMDGPU.csdata,"",@progbits
; Kernel info:
; codeLenInByte = 12948
; NumSgprs: 99
; NumVgprs: 113
; ScratchSize: 480
; MemoryBound: 0
; FloatMode: 240
; IeeeMode: 1
; LDSByteSize: 32768 bytes/workgroup (compile time only)
; SGPRBlocks: 12
; VGPRBlocks: 14
; NumSGPRsForWavesPerEU: 99
; NumVGPRsForWavesPerEU: 113
; Occupancy: 8
; WaveLimiterHint : 1
; COMPUTE_PGM_RSRC2:SCRATCH_EN: 1
; COMPUTE_PGM_RSRC2:USER_SGPR: 15
; COMPUTE_PGM_RSRC2:TRAP_HANDLER: 0
; COMPUTE_PGM_RSRC2:TGID_X_EN: 1
; COMPUTE_PGM_RSRC2:TGID_Y_EN: 0
; COMPUTE_PGM_RSRC2:TGID_Z_EN: 0
; COMPUTE_PGM_RSRC2:TIDIG_COMP_CNT: 0
	.section	.text._ZN2ck16tensor_operation6device12_GLOBAL__N_137kernel_grouped_conv_fwd_dl_multiple_dINS_32GridwiseGemmDlMultipleD_km_kn_mnILi256EaiNS_5TupleIJaEEEaNS0_12element_wise11PassThroughES8_NS7_7AddReluELNS_25InMemoryDataOperationEnumE0ENS_16TensorDescriptorINS5_IJNS_5EmbedINS5_IJiiiiiEEESD_Lb0EEENS_11PassThroughIiEENS_3PadIiiiLb0EEESI_SI_SG_SG_NSC_INS5_IJiiEEESJ_Lb0EEESK_SK_SG_NS_23Merge_v2_magic_divisionINS5_IJiiiiEEEEESN_NS_8RightPadIiiLb0EEESP_NS_7UnMergeISJ_Lb0EEESG_EEENS5_IJNS_8SequenceIJLi0EEEENST_IJLi1EEEENST_IJLi2EEEENST_IJLi3EEEENST_IJLi4EEEENST_IJLi5EEEENST_IJLi6EEEENST_IJLi7EEEENST_IJLi8EEEENST_IJLi9EEEENST_IJLi10EEEENST_IJLi11ELi13ELi15ELi17EEEENST_IJLi12ELi14ELi16ELi18EEEENST_IJLi19EEEENST_IJLi20EEEENST_IJLi22EEEENST_IJLi21EEEEEEENS5_IJNST_IJLi1ELi2ELi3ELi4ELi5EEEES10_S11_S12_S13_S14_NST_IJLi11EEEENST_IJLi12ELi13EEEENST_IJLi14ELi15EEEENST_IJLi16ELi17EEEENST_IJLi18EEEES17_S18_S1A_S19_NST_IJLi23ELi24EEEENST_IJLi25EEEEEEENST_IJLi23ELi25ELi24EEEElEENSB_INS5_IJSR_SP_SP_SR_SG_EEENS5_IJSU_SV_SW_SY_SX_EEENS5_IJNST_IJLi1ELi2EEEESX_SY_NST_IJLi5ELi6EEEES11_EEENST_IJLi5ELi7ELi6EEEElEENSB_INS5_IJSK_SP_SP_EEENS5_IJSU_SV_SW_EEENS5_IJS1P_SX_SY_EEENST_IJLi3ELi4EEEElEELi128ELi128ELi16ELi4ELi4ELi4ELi1ENST_IJLi8ELi2EEEES1Z_NST_IJLi8ELi1ELi1ELi4EEEENST_IJLi2ELi1ELi128ELi1EEEENST_IJLi1ELi2ELi0ELi3EEEES22_NST_IJLi4ELi1ELi1ELi4EEEES22_NST_IJLi1ELi1ELi1ELi4EEEES20_S21_S22_S22_S23_S22_S24_NST_IJLi0ELi1ELi2ELi3ELi4ELi5EEEELi5ELi4EEEaNS5_IJPKaEEEaS8_S8_S9_NSB_INS5_IJSE_SG_SI_SI_SI_SG_SG_SK_SK_SK_SG_SN_SN_SP_SP_SR_SG_SG_NSQ_INS5_IJiNS_17integral_constantIiLi128EEEEEELb0EEENSF_INS2A_IiLi4EEEEEEEENS5_IJSU_SV_SW_SX_SY_SZ_S10_S11_S12_S13_S14_S15_S16_S17_S18_S19_S1A_NST_IJLi23EEEES1J_NST_IJLi24EEEEEEENS5_IJS1C_S10_S11_S12_S13_S14_S1D_S1E_S1F_S1G_S1H_S17_S18_S1A_S19_S1I_S1J_NST_IJLi26EEEENST_IJLi27ELi28EEEENST_IJLi29EEEEEEENST_IJLi26ELi27ELi28ELi29EEEElEENSB_INS5_IJSR_SP_SP_SR_SG_SG_S2D_S2F_EEENS5_IJSU_SV_SW_SY_SX_SZ_S11_S10_EEENS5_IJS1P_SX_SY_S1Q_S11_S12_NST_IJLi9ELi10EEEES1D_EEENST_IJLi8ELi9ELi10ELi11EEEElEENS5_IJNSB_INS5_IJSK_SP_SP_NSQ_INS5_IJiNS2A_IiLi2EEENS2A_IiLi64EEEEEELb0EEES2Z_EEENS5_IJSU_SV_SW_SX_SY_EEENS5_IJS1P_SX_SY_NST_IJLi5ELi6ELi7EEEENST_IJLi8ELi9ELi10EEEEEEENST_IJLi5ELi6ELi7ELi8ELi9ELi10EEEElEEEEES36_NS_31BlockToCTileMap_M00_N00_M01_N01ILi128ELi128ES1Y_Lb0EEENS1_30ComputePtrOffsetOfStridedBatchILi1ELi1ELi1EvEELb0ELb1EEEvPKT0_S3E_T1_PT2_T3_T4_T5_iT6_T7_T8_T9_T10_T11_,"axG",@progbits,_ZN2ck16tensor_operation6device12_GLOBAL__N_137kernel_grouped_conv_fwd_dl_multiple_dINS_32GridwiseGemmDlMultipleD_km_kn_mnILi256EaiNS_5TupleIJaEEEaNS0_12element_wise11PassThroughES8_NS7_7AddReluELNS_25InMemoryDataOperationEnumE0ENS_16TensorDescriptorINS5_IJNS_5EmbedINS5_IJiiiiiEEESD_Lb0EEENS_11PassThroughIiEENS_3PadIiiiLb0EEESI_SI_SG_SG_NSC_INS5_IJiiEEESJ_Lb0EEESK_SK_SG_NS_23Merge_v2_magic_divisionINS5_IJiiiiEEEEESN_NS_8RightPadIiiLb0EEESP_NS_7UnMergeISJ_Lb0EEESG_EEENS5_IJNS_8SequenceIJLi0EEEENST_IJLi1EEEENST_IJLi2EEEENST_IJLi3EEEENST_IJLi4EEEENST_IJLi5EEEENST_IJLi6EEEENST_IJLi7EEEENST_IJLi8EEEENST_IJLi9EEEENST_IJLi10EEEENST_IJLi11ELi13ELi15ELi17EEEENST_IJLi12ELi14ELi16ELi18EEEENST_IJLi19EEEENST_IJLi20EEEENST_IJLi22EEEENST_IJLi21EEEEEEENS5_IJNST_IJLi1ELi2ELi3ELi4ELi5EEEES10_S11_S12_S13_S14_NST_IJLi11EEEENST_IJLi12ELi13EEEENST_IJLi14ELi15EEEENST_IJLi16ELi17EEEENST_IJLi18EEEES17_S18_S1A_S19_NST_IJLi23ELi24EEEENST_IJLi25EEEEEEENST_IJLi23ELi25ELi24EEEElEENSB_INS5_IJSR_SP_SP_SR_SG_EEENS5_IJSU_SV_SW_SY_SX_EEENS5_IJNST_IJLi1ELi2EEEESX_SY_NST_IJLi5ELi6EEEES11_EEENST_IJLi5ELi7ELi6EEEElEENSB_INS5_IJSK_SP_SP_EEENS5_IJSU_SV_SW_EEENS5_IJS1P_SX_SY_EEENST_IJLi3ELi4EEEElEELi128ELi128ELi16ELi4ELi4ELi4ELi1ENST_IJLi8ELi2EEEES1Z_NST_IJLi8ELi1ELi1ELi4EEEENST_IJLi2ELi1ELi128ELi1EEEENST_IJLi1ELi2ELi0ELi3EEEES22_NST_IJLi4ELi1ELi1ELi4EEEES22_NST_IJLi1ELi1ELi1ELi4EEEES20_S21_S22_S22_S23_S22_S24_NST_IJLi0ELi1ELi2ELi3ELi4ELi5EEEELi5ELi4EEEaNS5_IJPKaEEEaS8_S8_S9_NSB_INS5_IJSE_SG_SI_SI_SI_SG_SG_SK_SK_SK_SG_SN_SN_SP_SP_SR_SG_SG_NSQ_INS5_IJiNS_17integral_constantIiLi128EEEEEELb0EEENSF_INS2A_IiLi4EEEEEEEENS5_IJSU_SV_SW_SX_SY_SZ_S10_S11_S12_S13_S14_S15_S16_S17_S18_S19_S1A_NST_IJLi23EEEES1J_NST_IJLi24EEEEEEENS5_IJS1C_S10_S11_S12_S13_S14_S1D_S1E_S1F_S1G_S1H_S17_S18_S1A_S19_S1I_S1J_NST_IJLi26EEEENST_IJLi27ELi28EEEENST_IJLi29EEEEEEENST_IJLi26ELi27ELi28ELi29EEEElEENSB_INS5_IJSR_SP_SP_SR_SG_SG_S2D_S2F_EEENS5_IJSU_SV_SW_SY_SX_SZ_S11_S10_EEENS5_IJS1P_SX_SY_S1Q_S11_S12_NST_IJLi9ELi10EEEES1D_EEENST_IJLi8ELi9ELi10ELi11EEEElEENS5_IJNSB_INS5_IJSK_SP_SP_NSQ_INS5_IJiNS2A_IiLi2EEENS2A_IiLi64EEEEEELb0EEES2Z_EEENS5_IJSU_SV_SW_SX_SY_EEENS5_IJS1P_SX_SY_NST_IJLi5ELi6ELi7EEEENST_IJLi8ELi9ELi10EEEEEEENST_IJLi5ELi6ELi7ELi8ELi9ELi10EEEElEEEEES36_NS_31BlockToCTileMap_M00_N00_M01_N01ILi128ELi128ES1Y_Lb0EEENS1_30ComputePtrOffsetOfStridedBatchILi1ELi1ELi1EvEELb0ELb1EEEvPKT0_S3E_T1_PT2_T3_T4_T5_iT6_T7_T8_T9_T10_T11_,comdat
	.globl	_ZN2ck16tensor_operation6device12_GLOBAL__N_137kernel_grouped_conv_fwd_dl_multiple_dINS_32GridwiseGemmDlMultipleD_km_kn_mnILi256EaiNS_5TupleIJaEEEaNS0_12element_wise11PassThroughES8_NS7_7AddReluELNS_25InMemoryDataOperationEnumE0ENS_16TensorDescriptorINS5_IJNS_5EmbedINS5_IJiiiiiEEESD_Lb0EEENS_11PassThroughIiEENS_3PadIiiiLb0EEESI_SI_SG_SG_NSC_INS5_IJiiEEESJ_Lb0EEESK_SK_SG_NS_23Merge_v2_magic_divisionINS5_IJiiiiEEEEESN_NS_8RightPadIiiLb0EEESP_NS_7UnMergeISJ_Lb0EEESG_EEENS5_IJNS_8SequenceIJLi0EEEENST_IJLi1EEEENST_IJLi2EEEENST_IJLi3EEEENST_IJLi4EEEENST_IJLi5EEEENST_IJLi6EEEENST_IJLi7EEEENST_IJLi8EEEENST_IJLi9EEEENST_IJLi10EEEENST_IJLi11ELi13ELi15ELi17EEEENST_IJLi12ELi14ELi16ELi18EEEENST_IJLi19EEEENST_IJLi20EEEENST_IJLi22EEEENST_IJLi21EEEEEEENS5_IJNST_IJLi1ELi2ELi3ELi4ELi5EEEES10_S11_S12_S13_S14_NST_IJLi11EEEENST_IJLi12ELi13EEEENST_IJLi14ELi15EEEENST_IJLi16ELi17EEEENST_IJLi18EEEES17_S18_S1A_S19_NST_IJLi23ELi24EEEENST_IJLi25EEEEEEENST_IJLi23ELi25ELi24EEEElEENSB_INS5_IJSR_SP_SP_SR_SG_EEENS5_IJSU_SV_SW_SY_SX_EEENS5_IJNST_IJLi1ELi2EEEESX_SY_NST_IJLi5ELi6EEEES11_EEENST_IJLi5ELi7ELi6EEEElEENSB_INS5_IJSK_SP_SP_EEENS5_IJSU_SV_SW_EEENS5_IJS1P_SX_SY_EEENST_IJLi3ELi4EEEElEELi128ELi128ELi16ELi4ELi4ELi4ELi1ENST_IJLi8ELi2EEEES1Z_NST_IJLi8ELi1ELi1ELi4EEEENST_IJLi2ELi1ELi128ELi1EEEENST_IJLi1ELi2ELi0ELi3EEEES22_NST_IJLi4ELi1ELi1ELi4EEEES22_NST_IJLi1ELi1ELi1ELi4EEEES20_S21_S22_S22_S23_S22_S24_NST_IJLi0ELi1ELi2ELi3ELi4ELi5EEEELi5ELi4EEEaNS5_IJPKaEEEaS8_S8_S9_NSB_INS5_IJSE_SG_SI_SI_SI_SG_SG_SK_SK_SK_SG_SN_SN_SP_SP_SR_SG_SG_NSQ_INS5_IJiNS_17integral_constantIiLi128EEEEEELb0EEENSF_INS2A_IiLi4EEEEEEEENS5_IJSU_SV_SW_SX_SY_SZ_S10_S11_S12_S13_S14_S15_S16_S17_S18_S19_S1A_NST_IJLi23EEEES1J_NST_IJLi24EEEEEEENS5_IJS1C_S10_S11_S12_S13_S14_S1D_S1E_S1F_S1G_S1H_S17_S18_S1A_S19_S1I_S1J_NST_IJLi26EEEENST_IJLi27ELi28EEEENST_IJLi29EEEEEEENST_IJLi26ELi27ELi28ELi29EEEElEENSB_INS5_IJSR_SP_SP_SR_SG_SG_S2D_S2F_EEENS5_IJSU_SV_SW_SY_SX_SZ_S11_S10_EEENS5_IJS1P_SX_SY_S1Q_S11_S12_NST_IJLi9ELi10EEEES1D_EEENST_IJLi8ELi9ELi10ELi11EEEElEENS5_IJNSB_INS5_IJSK_SP_SP_NSQ_INS5_IJiNS2A_IiLi2EEENS2A_IiLi64EEEEEELb0EEES2Z_EEENS5_IJSU_SV_SW_SX_SY_EEENS5_IJS1P_SX_SY_NST_IJLi5ELi6ELi7EEEENST_IJLi8ELi9ELi10EEEEEEENST_IJLi5ELi6ELi7ELi8ELi9ELi10EEEElEEEEES36_NS_31BlockToCTileMap_M00_N00_M01_N01ILi128ELi128ES1Y_Lb0EEENS1_30ComputePtrOffsetOfStridedBatchILi1ELi1ELi1EvEELb0ELb1EEEvPKT0_S3E_T1_PT2_T3_T4_T5_iT6_T7_T8_T9_T10_T11_ ; -- Begin function _ZN2ck16tensor_operation6device12_GLOBAL__N_137kernel_grouped_conv_fwd_dl_multiple_dINS_32GridwiseGemmDlMultipleD_km_kn_mnILi256EaiNS_5TupleIJaEEEaNS0_12element_wise11PassThroughES8_NS7_7AddReluELNS_25InMemoryDataOperationEnumE0ENS_16TensorDescriptorINS5_IJNS_5EmbedINS5_IJiiiiiEEESD_Lb0EEENS_11PassThroughIiEENS_3PadIiiiLb0EEESI_SI_SG_SG_NSC_INS5_IJiiEEESJ_Lb0EEESK_SK_SG_NS_23Merge_v2_magic_divisionINS5_IJiiiiEEEEESN_NS_8RightPadIiiLb0EEESP_NS_7UnMergeISJ_Lb0EEESG_EEENS5_IJNS_8SequenceIJLi0EEEENST_IJLi1EEEENST_IJLi2EEEENST_IJLi3EEEENST_IJLi4EEEENST_IJLi5EEEENST_IJLi6EEEENST_IJLi7EEEENST_IJLi8EEEENST_IJLi9EEEENST_IJLi10EEEENST_IJLi11ELi13ELi15ELi17EEEENST_IJLi12ELi14ELi16ELi18EEEENST_IJLi19EEEENST_IJLi20EEEENST_IJLi22EEEENST_IJLi21EEEEEEENS5_IJNST_IJLi1ELi2ELi3ELi4ELi5EEEES10_S11_S12_S13_S14_NST_IJLi11EEEENST_IJLi12ELi13EEEENST_IJLi14ELi15EEEENST_IJLi16ELi17EEEENST_IJLi18EEEES17_S18_S1A_S19_NST_IJLi23ELi24EEEENST_IJLi25EEEEEEENST_IJLi23ELi25ELi24EEEElEENSB_INS5_IJSR_SP_SP_SR_SG_EEENS5_IJSU_SV_SW_SY_SX_EEENS5_IJNST_IJLi1ELi2EEEESX_SY_NST_IJLi5ELi6EEEES11_EEENST_IJLi5ELi7ELi6EEEElEENSB_INS5_IJSK_SP_SP_EEENS5_IJSU_SV_SW_EEENS5_IJS1P_SX_SY_EEENST_IJLi3ELi4EEEElEELi128ELi128ELi16ELi4ELi4ELi4ELi1ENST_IJLi8ELi2EEEES1Z_NST_IJLi8ELi1ELi1ELi4EEEENST_IJLi2ELi1ELi128ELi1EEEENST_IJLi1ELi2ELi0ELi3EEEES22_NST_IJLi4ELi1ELi1ELi4EEEES22_NST_IJLi1ELi1ELi1ELi4EEEES20_S21_S22_S22_S23_S22_S24_NST_IJLi0ELi1ELi2ELi3ELi4ELi5EEEELi5ELi4EEEaNS5_IJPKaEEEaS8_S8_S9_NSB_INS5_IJSE_SG_SI_SI_SI_SG_SG_SK_SK_SK_SG_SN_SN_SP_SP_SR_SG_SG_NSQ_INS5_IJiNS_17integral_constantIiLi128EEEEEELb0EEENSF_INS2A_IiLi4EEEEEEEENS5_IJSU_SV_SW_SX_SY_SZ_S10_S11_S12_S13_S14_S15_S16_S17_S18_S19_S1A_NST_IJLi23EEEES1J_NST_IJLi24EEEEEEENS5_IJS1C_S10_S11_S12_S13_S14_S1D_S1E_S1F_S1G_S1H_S17_S18_S1A_S19_S1I_S1J_NST_IJLi26EEEENST_IJLi27ELi28EEEENST_IJLi29EEEEEEENST_IJLi26ELi27ELi28ELi29EEEElEENSB_INS5_IJSR_SP_SP_SR_SG_SG_S2D_S2F_EEENS5_IJSU_SV_SW_SY_SX_SZ_S11_S10_EEENS5_IJS1P_SX_SY_S1Q_S11_S12_NST_IJLi9ELi10EEEES1D_EEENST_IJLi8ELi9ELi10ELi11EEEElEENS5_IJNSB_INS5_IJSK_SP_SP_NSQ_INS5_IJiNS2A_IiLi2EEENS2A_IiLi64EEEEEELb0EEES2Z_EEENS5_IJSU_SV_SW_SX_SY_EEENS5_IJS1P_SX_SY_NST_IJLi5ELi6ELi7EEEENST_IJLi8ELi9ELi10EEEEEEENST_IJLi5ELi6ELi7ELi8ELi9ELi10EEEElEEEEES36_NS_31BlockToCTileMap_M00_N00_M01_N01ILi128ELi128ES1Y_Lb0EEENS1_30ComputePtrOffsetOfStridedBatchILi1ELi1ELi1EvEELb0ELb1EEEvPKT0_S3E_T1_PT2_T3_T4_T5_iT6_T7_T8_T9_T10_T11_
	.p2align	8
	.type	_ZN2ck16tensor_operation6device12_GLOBAL__N_137kernel_grouped_conv_fwd_dl_multiple_dINS_32GridwiseGemmDlMultipleD_km_kn_mnILi256EaiNS_5TupleIJaEEEaNS0_12element_wise11PassThroughES8_NS7_7AddReluELNS_25InMemoryDataOperationEnumE0ENS_16TensorDescriptorINS5_IJNS_5EmbedINS5_IJiiiiiEEESD_Lb0EEENS_11PassThroughIiEENS_3PadIiiiLb0EEESI_SI_SG_SG_NSC_INS5_IJiiEEESJ_Lb0EEESK_SK_SG_NS_23Merge_v2_magic_divisionINS5_IJiiiiEEEEESN_NS_8RightPadIiiLb0EEESP_NS_7UnMergeISJ_Lb0EEESG_EEENS5_IJNS_8SequenceIJLi0EEEENST_IJLi1EEEENST_IJLi2EEEENST_IJLi3EEEENST_IJLi4EEEENST_IJLi5EEEENST_IJLi6EEEENST_IJLi7EEEENST_IJLi8EEEENST_IJLi9EEEENST_IJLi10EEEENST_IJLi11ELi13ELi15ELi17EEEENST_IJLi12ELi14ELi16ELi18EEEENST_IJLi19EEEENST_IJLi20EEEENST_IJLi22EEEENST_IJLi21EEEEEEENS5_IJNST_IJLi1ELi2ELi3ELi4ELi5EEEES10_S11_S12_S13_S14_NST_IJLi11EEEENST_IJLi12ELi13EEEENST_IJLi14ELi15EEEENST_IJLi16ELi17EEEENST_IJLi18EEEES17_S18_S1A_S19_NST_IJLi23ELi24EEEENST_IJLi25EEEEEEENST_IJLi23ELi25ELi24EEEElEENSB_INS5_IJSR_SP_SP_SR_SG_EEENS5_IJSU_SV_SW_SY_SX_EEENS5_IJNST_IJLi1ELi2EEEESX_SY_NST_IJLi5ELi6EEEES11_EEENST_IJLi5ELi7ELi6EEEElEENSB_INS5_IJSK_SP_SP_EEENS5_IJSU_SV_SW_EEENS5_IJS1P_SX_SY_EEENST_IJLi3ELi4EEEElEELi128ELi128ELi16ELi4ELi4ELi4ELi1ENST_IJLi8ELi2EEEES1Z_NST_IJLi8ELi1ELi1ELi4EEEENST_IJLi2ELi1ELi128ELi1EEEENST_IJLi1ELi2ELi0ELi3EEEES22_NST_IJLi4ELi1ELi1ELi4EEEES22_NST_IJLi1ELi1ELi1ELi4EEEES20_S21_S22_S22_S23_S22_S24_NST_IJLi0ELi1ELi2ELi3ELi4ELi5EEEELi5ELi4EEEaNS5_IJPKaEEEaS8_S8_S9_NSB_INS5_IJSE_SG_SI_SI_SI_SG_SG_SK_SK_SK_SG_SN_SN_SP_SP_SR_SG_SG_NSQ_INS5_IJiNS_17integral_constantIiLi128EEEEEELb0EEENSF_INS2A_IiLi4EEEEEEEENS5_IJSU_SV_SW_SX_SY_SZ_S10_S11_S12_S13_S14_S15_S16_S17_S18_S19_S1A_NST_IJLi23EEEES1J_NST_IJLi24EEEEEEENS5_IJS1C_S10_S11_S12_S13_S14_S1D_S1E_S1F_S1G_S1H_S17_S18_S1A_S19_S1I_S1J_NST_IJLi26EEEENST_IJLi27ELi28EEEENST_IJLi29EEEEEEENST_IJLi26ELi27ELi28ELi29EEEElEENSB_INS5_IJSR_SP_SP_SR_SG_SG_S2D_S2F_EEENS5_IJSU_SV_SW_SY_SX_SZ_S11_S10_EEENS5_IJS1P_SX_SY_S1Q_S11_S12_NST_IJLi9ELi10EEEES1D_EEENST_IJLi8ELi9ELi10ELi11EEEElEENS5_IJNSB_INS5_IJSK_SP_SP_NSQ_INS5_IJiNS2A_IiLi2EEENS2A_IiLi64EEEEEELb0EEES2Z_EEENS5_IJSU_SV_SW_SX_SY_EEENS5_IJS1P_SX_SY_NST_IJLi5ELi6ELi7EEEENST_IJLi8ELi9ELi10EEEEEEENST_IJLi5ELi6ELi7ELi8ELi9ELi10EEEElEEEEES36_NS_31BlockToCTileMap_M00_N00_M01_N01ILi128ELi128ES1Y_Lb0EEENS1_30ComputePtrOffsetOfStridedBatchILi1ELi1ELi1EvEELb0ELb1EEEvPKT0_S3E_T1_PT2_T3_T4_T5_iT6_T7_T8_T9_T10_T11_,@function
_ZN2ck16tensor_operation6device12_GLOBAL__N_137kernel_grouped_conv_fwd_dl_multiple_dINS_32GridwiseGemmDlMultipleD_km_kn_mnILi256EaiNS_5TupleIJaEEEaNS0_12element_wise11PassThroughES8_NS7_7AddReluELNS_25InMemoryDataOperationEnumE0ENS_16TensorDescriptorINS5_IJNS_5EmbedINS5_IJiiiiiEEESD_Lb0EEENS_11PassThroughIiEENS_3PadIiiiLb0EEESI_SI_SG_SG_NSC_INS5_IJiiEEESJ_Lb0EEESK_SK_SG_NS_23Merge_v2_magic_divisionINS5_IJiiiiEEEEESN_NS_8RightPadIiiLb0EEESP_NS_7UnMergeISJ_Lb0EEESG_EEENS5_IJNS_8SequenceIJLi0EEEENST_IJLi1EEEENST_IJLi2EEEENST_IJLi3EEEENST_IJLi4EEEENST_IJLi5EEEENST_IJLi6EEEENST_IJLi7EEEENST_IJLi8EEEENST_IJLi9EEEENST_IJLi10EEEENST_IJLi11ELi13ELi15ELi17EEEENST_IJLi12ELi14ELi16ELi18EEEENST_IJLi19EEEENST_IJLi20EEEENST_IJLi22EEEENST_IJLi21EEEEEEENS5_IJNST_IJLi1ELi2ELi3ELi4ELi5EEEES10_S11_S12_S13_S14_NST_IJLi11EEEENST_IJLi12ELi13EEEENST_IJLi14ELi15EEEENST_IJLi16ELi17EEEENST_IJLi18EEEES17_S18_S1A_S19_NST_IJLi23ELi24EEEENST_IJLi25EEEEEEENST_IJLi23ELi25ELi24EEEElEENSB_INS5_IJSR_SP_SP_SR_SG_EEENS5_IJSU_SV_SW_SY_SX_EEENS5_IJNST_IJLi1ELi2EEEESX_SY_NST_IJLi5ELi6EEEES11_EEENST_IJLi5ELi7ELi6EEEElEENSB_INS5_IJSK_SP_SP_EEENS5_IJSU_SV_SW_EEENS5_IJS1P_SX_SY_EEENST_IJLi3ELi4EEEElEELi128ELi128ELi16ELi4ELi4ELi4ELi1ENST_IJLi8ELi2EEEES1Z_NST_IJLi8ELi1ELi1ELi4EEEENST_IJLi2ELi1ELi128ELi1EEEENST_IJLi1ELi2ELi0ELi3EEEES22_NST_IJLi4ELi1ELi1ELi4EEEES22_NST_IJLi1ELi1ELi1ELi4EEEES20_S21_S22_S22_S23_S22_S24_NST_IJLi0ELi1ELi2ELi3ELi4ELi5EEEELi5ELi4EEEaNS5_IJPKaEEEaS8_S8_S9_NSB_INS5_IJSE_SG_SI_SI_SI_SG_SG_SK_SK_SK_SG_SN_SN_SP_SP_SR_SG_SG_NSQ_INS5_IJiNS_17integral_constantIiLi128EEEEEELb0EEENSF_INS2A_IiLi4EEEEEEEENS5_IJSU_SV_SW_SX_SY_SZ_S10_S11_S12_S13_S14_S15_S16_S17_S18_S19_S1A_NST_IJLi23EEEES1J_NST_IJLi24EEEEEEENS5_IJS1C_S10_S11_S12_S13_S14_S1D_S1E_S1F_S1G_S1H_S17_S18_S1A_S19_S1I_S1J_NST_IJLi26EEEENST_IJLi27ELi28EEEENST_IJLi29EEEEEEENST_IJLi26ELi27ELi28ELi29EEEElEENSB_INS5_IJSR_SP_SP_SR_SG_SG_S2D_S2F_EEENS5_IJSU_SV_SW_SY_SX_SZ_S11_S10_EEENS5_IJS1P_SX_SY_S1Q_S11_S12_NST_IJLi9ELi10EEEES1D_EEENST_IJLi8ELi9ELi10ELi11EEEElEENS5_IJNSB_INS5_IJSK_SP_SP_NSQ_INS5_IJiNS2A_IiLi2EEENS2A_IiLi64EEEEEELb0EEES2Z_EEENS5_IJSU_SV_SW_SX_SY_EEENS5_IJS1P_SX_SY_NST_IJLi5ELi6ELi7EEEENST_IJLi8ELi9ELi10EEEEEEENST_IJLi5ELi6ELi7ELi8ELi9ELi10EEEElEEEEES36_NS_31BlockToCTileMap_M00_N00_M01_N01ILi128ELi128ES1Y_Lb0EEENS1_30ComputePtrOffsetOfStridedBatchILi1ELi1ELi1EvEELb0ELb1EEEvPKT0_S3E_T1_PT2_T3_T4_T5_iT6_T7_T8_T9_T10_T11_: ; @_ZN2ck16tensor_operation6device12_GLOBAL__N_137kernel_grouped_conv_fwd_dl_multiple_dINS_32GridwiseGemmDlMultipleD_km_kn_mnILi256EaiNS_5TupleIJaEEEaNS0_12element_wise11PassThroughES8_NS7_7AddReluELNS_25InMemoryDataOperationEnumE0ENS_16TensorDescriptorINS5_IJNS_5EmbedINS5_IJiiiiiEEESD_Lb0EEENS_11PassThroughIiEENS_3PadIiiiLb0EEESI_SI_SG_SG_NSC_INS5_IJiiEEESJ_Lb0EEESK_SK_SG_NS_23Merge_v2_magic_divisionINS5_IJiiiiEEEEESN_NS_8RightPadIiiLb0EEESP_NS_7UnMergeISJ_Lb0EEESG_EEENS5_IJNS_8SequenceIJLi0EEEENST_IJLi1EEEENST_IJLi2EEEENST_IJLi3EEEENST_IJLi4EEEENST_IJLi5EEEENST_IJLi6EEEENST_IJLi7EEEENST_IJLi8EEEENST_IJLi9EEEENST_IJLi10EEEENST_IJLi11ELi13ELi15ELi17EEEENST_IJLi12ELi14ELi16ELi18EEEENST_IJLi19EEEENST_IJLi20EEEENST_IJLi22EEEENST_IJLi21EEEEEEENS5_IJNST_IJLi1ELi2ELi3ELi4ELi5EEEES10_S11_S12_S13_S14_NST_IJLi11EEEENST_IJLi12ELi13EEEENST_IJLi14ELi15EEEENST_IJLi16ELi17EEEENST_IJLi18EEEES17_S18_S1A_S19_NST_IJLi23ELi24EEEENST_IJLi25EEEEEEENST_IJLi23ELi25ELi24EEEElEENSB_INS5_IJSR_SP_SP_SR_SG_EEENS5_IJSU_SV_SW_SY_SX_EEENS5_IJNST_IJLi1ELi2EEEESX_SY_NST_IJLi5ELi6EEEES11_EEENST_IJLi5ELi7ELi6EEEElEENSB_INS5_IJSK_SP_SP_EEENS5_IJSU_SV_SW_EEENS5_IJS1P_SX_SY_EEENST_IJLi3ELi4EEEElEELi128ELi128ELi16ELi4ELi4ELi4ELi1ENST_IJLi8ELi2EEEES1Z_NST_IJLi8ELi1ELi1ELi4EEEENST_IJLi2ELi1ELi128ELi1EEEENST_IJLi1ELi2ELi0ELi3EEEES22_NST_IJLi4ELi1ELi1ELi4EEEES22_NST_IJLi1ELi1ELi1ELi4EEEES20_S21_S22_S22_S23_S22_S24_NST_IJLi0ELi1ELi2ELi3ELi4ELi5EEEELi5ELi4EEEaNS5_IJPKaEEEaS8_S8_S9_NSB_INS5_IJSE_SG_SI_SI_SI_SG_SG_SK_SK_SK_SG_SN_SN_SP_SP_SR_SG_SG_NSQ_INS5_IJiNS_17integral_constantIiLi128EEEEEELb0EEENSF_INS2A_IiLi4EEEEEEEENS5_IJSU_SV_SW_SX_SY_SZ_S10_S11_S12_S13_S14_S15_S16_S17_S18_S19_S1A_NST_IJLi23EEEES1J_NST_IJLi24EEEEEEENS5_IJS1C_S10_S11_S12_S13_S14_S1D_S1E_S1F_S1G_S1H_S17_S18_S1A_S19_S1I_S1J_NST_IJLi26EEEENST_IJLi27ELi28EEEENST_IJLi29EEEEEEENST_IJLi26ELi27ELi28ELi29EEEElEENSB_INS5_IJSR_SP_SP_SR_SG_SG_S2D_S2F_EEENS5_IJSU_SV_SW_SY_SX_SZ_S11_S10_EEENS5_IJS1P_SX_SY_S1Q_S11_S12_NST_IJLi9ELi10EEEES1D_EEENST_IJLi8ELi9ELi10ELi11EEEElEENS5_IJNSB_INS5_IJSK_SP_SP_NSQ_INS5_IJiNS2A_IiLi2EEENS2A_IiLi64EEEEEELb0EEES2Z_EEENS5_IJSU_SV_SW_SX_SY_EEENS5_IJS1P_SX_SY_NST_IJLi5ELi6ELi7EEEENST_IJLi8ELi9ELi10EEEEEEENST_IJLi5ELi6ELi7ELi8ELi9ELi10EEEElEEEEES36_NS_31BlockToCTileMap_M00_N00_M01_N01ILi128ELi128ES1Y_Lb0EEENS1_30ComputePtrOffsetOfStridedBatchILi1ELi1ELi1EvEELb0ELb1EEEvPKT0_S3E_T1_PT2_T3_T4_T5_iT6_T7_T8_T9_T10_T11_
; %bb.0:
	s_clause 0x3
	s_load_b32 s2, s[0:1], 0x24
	s_load_b128 s[48:51], s[0:1], 0x3c
	s_load_b32 s14, s[0:1], 0x4c
	s_load_b32 s4, s[0:1], 0x300
	s_mov_b32 s60, 0
	s_clause 0x3
	s_load_b256 s[16:23], s[0:1], 0x54
	s_load_b64 s[78:79], s[0:1], 0x88
	s_load_b64 s[76:77], s[0:1], 0x98
	;; [unrolled: 1-line block ×3, first 2 shown]
	s_mov_b32 s61, s60
	s_mov_b32 s62, s60
	;; [unrolled: 1-line block ×3, first 2 shown]
	s_mov_b64 s[44:45], src_shared_base
	s_clause 0x1
	s_load_b256 s[68:75], s[0:1], 0x2d8
	s_load_b256 s[36:43], s[0:1], 0x0
	v_dual_mov_b32 v17, s45 :: v_dual_lshlrev_b32 v8, 1, v0
	v_lshrrev_b32_e32 v24, 1, v0
	v_lshrrev_b32_e32 v6, 5, v0
	s_movk_i32 s32, 0x1e0
	v_mov_b32_e32 v34, 0
	v_dual_mov_b32 v38, s60 :: v_dual_mov_b32 v39, s61
	v_mov_b32_e32 v40, s62
	s_waitcnt lgkmcnt(0)
	s_abs_i32 s3, s2
	v_dual_mov_b32 v41, s63 :: v_dual_lshlrev_b32 v2, 3, v0
	v_cvt_f32_u32_e32 v1, s3
	s_sub_i32 s6, 0, s3
	s_abs_i32 s7, s4
	s_xor_b32 s2, s4, s2
	v_dual_mov_b32 v36, v34 :: v_dual_and_b32 v25, 8, v2
	v_rcp_iflag_f32_e32 v1, v1
	s_ashr_i32 s2, s2, 31
	v_dual_mov_b32 v3, v34 :: v_dual_lshlrev_b32 v10, 6, v6
	v_mov_b32_e32 v5, v34
	v_dual_mov_b32 v7, v34 :: v_dual_lshlrev_b32 v0, 2, v0
	v_mov_b32_e32 v9, v34
	v_mov_b32_e32 v13, v34
	s_waitcnt_depctr 0xfff
	v_mul_f32_e32 v1, 0x4f7ffffe, v1
	s_delay_alu instid0(VALU_DEP_1) | instskip(NEXT) | instid1(VALU_DEP_1)
	v_cvt_u32_f32_e32 v1, v1
	v_readfirstlane_b32 s5, v1
	s_delay_alu instid0(VALU_DEP_1) | instskip(NEXT) | instid1(SALU_CYCLE_1)
	s_mul_i32 s6, s6, s5
	s_mul_hi_u32 s6, s5, s6
	s_delay_alu instid0(SALU_CYCLE_1) | instskip(NEXT) | instid1(SALU_CYCLE_1)
	s_add_i32 s5, s5, s6
	s_mul_hi_u32 s5, s7, s5
	s_delay_alu instid0(SALU_CYCLE_1) | instskip(SKIP_2) | instid1(SALU_CYCLE_1)
	s_mul_i32 s4, s5, s3
	s_add_i32 s6, s5, 1
	s_sub_i32 s4, s7, s4
	s_sub_i32 s7, s4, s3
	s_cmp_ge_u32 s4, s3
	s_cselect_b32 s5, s6, s5
	s_cselect_b32 s4, s7, s4
	s_add_i32 s6, s5, 1
	s_cmp_ge_u32 s4, s3
	s_cselect_b32 s3, s6, s5
	s_clause 0x2
	s_load_b256 s[4:11], s[0:1], 0xb8
	s_load_b128 s[64:67], s[0:1], 0xd8
	s_load_b256 s[24:31], s[0:1], 0xec
	s_xor_b32 s3, s3, s2
	s_abs_i32 s44, s15
	s_sub_i32 s13, s3, s2
	s_clause 0x1
	s_load_b128 s[56:59], s[0:1], 0x10c
	s_load_b32 s2, s[0:1], 0x120
	s_waitcnt lgkmcnt(0)
	s_clause 0x1
	s_load_b32 s31, s[0:1], 0x12c
	s_load_b32 s67, s[0:1], 0x13c
	s_abs_i32 s12, s13
	s_xor_b32 s13, s15, s13
	v_cvt_f32_u32_e32 v1, s12
	s_sub_i32 s3, 0, s12
	s_ashr_i32 s13, s13, 31
	s_delay_alu instid0(VALU_DEP_1) | instskip(SKIP_4) | instid1(VALU_DEP_2)
	v_rcp_iflag_f32_e32 v1, v1
	s_waitcnt_depctr 0xfff
	v_mul_f32_e32 v1, 0x4f7ffffe, v1
	s_waitcnt lgkmcnt(0)
	v_mul_lo_u32 v26, s67, v25
	v_cvt_u32_f32_e32 v1, v1
	s_delay_alu instid0(VALU_DEP_1) | instskip(SKIP_1) | instid1(VALU_DEP_4)
	v_readfirstlane_b32 s7, v1
	v_mov_b32_e32 v1, v34
	v_mul_hi_u32 v2, v26, s30
	s_delay_alu instid0(VALU_DEP_3)
	s_mul_i32 s33, s3, s7
	s_clause 0x7
	s_load_b32 s46, s[0:1], 0x160
	s_load_b32 s3, s[0:1], 0x170
	;; [unrolled: 1-line block ×6, first 2 shown]
	s_load_b64 s[34:35], s[0:1], 0x1d0
	s_load_b32 s27, s[0:1], 0x1dc
	s_mul_hi_u32 s33, s7, s33
	s_clause 0x1
	s_load_b32 s55, s[0:1], 0x27c
	s_load_b32 s83, s[0:1], 0x28c
	s_add_i32 s7, s7, s33
	v_add_nc_u32_e32 v2, v26, v2
	s_mul_hi_u32 s7, s44, s7
	s_delay_alu instid0(SALU_CYCLE_1) | instskip(NEXT) | instid1(SALU_CYCLE_1)
	s_mul_i32 s33, s7, s12
	s_sub_i32 s33, s44, s33
	s_add_i32 s44, s7, 1
	s_sub_i32 s47, s33, s12
	s_cmp_ge_u32 s33, s12
	v_lshrrev_b32_e32 v20, s58, v2
	s_cselect_b32 s7, s44, s7
	s_cselect_b32 s33, s47, s33
	s_add_i32 s44, s7, 1
	s_cmp_ge_u32 s33, s12
	v_mul_hi_u32 v14, v20, s29
	s_cselect_b32 s7, s44, s7
	v_and_b32_e32 v2, 0x1f8, v8
	s_xor_b32 s7, s7, s13
	v_and_b32_e32 v8, 0x1fc, v8
	s_sub_i32 s7, s7, s13
	v_mov_b32_e32 v11, v34
	s_ashr_i32 s12, s7, 31
	s_mul_hi_u32 s13, s68, s7
	s_mul_i32 s33, s69, s7
	s_mul_i32 s44, s68, s7
	s_mul_hi_u32 s47, s70, s7
	s_mul_i32 s52, s71, s7
	s_mul_i32 s53, s70, s7
	;; [unrolled: 3-line block ×4, first 2 shown]
	s_mul_i32 s68, s68, s12
	s_mul_i32 s69, s70, s12
	;; [unrolled: 1-line block ×4, first 2 shown]
	s_clause 0x1
	s_load_b128 s[60:63], s[0:1], 0x298
	s_load_b128 s[72:75], s[0:1], 0x2ac
	s_add_i32 s13, s13, s68
	s_add_i32 s45, s47, s69
	s_load_b128 s[68:71], s[0:1], 0x2c0
	s_add_i32 s47, s84, s89
	s_add_i32 s12, s87, s12
	;; [unrolled: 1-line block ×6, first 2 shown]
	s_add_u32 s40, s40, s7
	s_addc_u32 s41, s41, s12
	s_add_u32 s44, s36, s44
	s_addc_u32 s45, s37, s13
	;; [unrolled: 2-line block ×4, first 2 shown]
	v_sub_nc_u32_e32 v10, v2, v10
	v_sub_nc_u32_e32 v2, v8, v2
	v_add_nc_u32_e32 v8, v20, v14
	s_waitcnt lgkmcnt(0)
	s_mul_hi_u32 s75, s75, s15
	s_lshl_b32 s42, s67, 2
	s_add_i32 s7, s15, s75
	v_mov_b32_e32 v12, v34
	s_lshr_b32 s7, s7, s71
	v_lshrrev_b32_e32 v21, s57, v8
	s_mul_hi_u32 s33, s7, s74
	v_lshl_add_u32 v35, v6, 3, v2
	s_add_i32 s33, s7, s33
	s_clause 0x1
	scratch_store_b128 off, v[38:41], off offset:144
	scratch_store_b128 off, v[38:41], off offset:160
	s_lshr_b32 s36, s33, s70
	v_mul_hi_u32 v19, v21, s28
	s_mul_hi_u32 s33, s36, s73
	s_mul_i32 s38, s36, s62
	s_add_i32 s33, s36, s33
	s_sub_i32 s38, s7, s38
	s_lshr_b32 s37, s33, s69
	v_mov_b32_e32 v4, v34
	s_mul_hi_u32 s33, s37, s72
	v_add_nc_u32_e32 v29, v21, v19
	s_add_i32 s33, s37, s33
	v_add_nc_u32_e32 v19, s42, v26
	s_lshr_b32 s33, s33, s68
	v_mov_b32_e32 v16, v34
	s_mul_i32 s33, s33, s60
	s_clause 0x1
	scratch_store_b128 off, v[38:41], off offset:176
	scratch_store_b128 off, v[38:41], off offset:192
	s_sub_i32 s33, s37, s33
	s_clause 0x1
	scratch_store_b128 off, v[38:41], off offset:208
	scratch_store_b128 off, v[38:41], off offset:224
	s_mul_i32 s33, s33, s55
	s_clause 0x1
	scratch_store_b128 off, v[38:41], off offset:240
	scratch_store_b128 off, v[38:41], off offset:256
	s_add_i32 s38, s38, s33
	s_clause 0x1
	scratch_store_b128 off, v[38:41], off offset:272
	scratch_store_b128 off, v[38:41], off offset:288
	s_lshl_b32 s33, s38, 7
	s_clause 0x1
	scratch_store_b128 off, v[38:41], off offset:304
	scratch_store_b128 off, v[38:41], off offset:320
	v_or_b32_e32 v27, s33, v24
	scratch_store_b64 off, v[16:17], off offset:400
	v_mov_b32_e32 v16, 0x4000
	v_and_or_b32 v37, v0, 4, v10
	v_lshlrev_b32_e32 v0, 2, v35
	v_mul_hi_u32 v18, v27, s10
	v_mov_b32_e32 v15, v34
	s_clause 0x2
	scratch_store_b128 off, v[38:41], off offset:336
	scratch_store_b128 off, v[38:41], off offset:352
	scratch_store_b64 off, v[16:17], off offset:416
	v_mov_b32_e32 v6, v35
	v_lshlrev_b32_e32 v8, 2, v37
	v_mov_b32_e32 v10, v37
	v_mul_lo_u32 v28, v21, s25
	v_add_nc_u32_e32 v14, v27, v18
	s_mul_i32 s37, s37, s61
	s_mul_i32 s7, s7, s63
	v_mul_lo_u32 v18, s11, v25
	s_sub_i32 s7, s15, s7
	v_lshrrev_b32_e32 v22, s66, v14
	v_mov_b32_e32 v16, 0x2000
	v_sub_nc_u32_e32 v28, v20, v28
	s_sub_i32 s38, s19, s21
	s_mov_b32 s47, 0x31004000
	v_mul_hi_u32 v23, v22, s9
	v_mov_b32_e32 v2, v35
	s_mov_b32 s55, s47
	v_cmp_gt_i32_e64 s2, s2, v27
	s_delay_alu instid0(VALU_DEP_3)
	v_add_nc_u32_e32 v23, v22, v23
	s_clause 0x1
	scratch_store_b128 off, v[34:37], off offset:64
	scratch_store_b128 off, v[0:3], off offset:80
	v_lshrrev_b32_e32 v3, s56, v29
	v_mul_hi_u32 v0, v19, s30
	s_clause 0x1
	scratch_store_b128 off, v[4:7], off offset:96
	scratch_store_b128 off, v[8:11], off offset:112
	v_lshrrev_b32_e32 v23, s65, v23
	v_mul_lo_u32 v1, v20, s26
	v_mul_lo_u32 v2, v3, s24
	;; [unrolled: 1-line block ×3, first 2 shown]
	s_delay_alu instid0(VALU_DEP_4)
	v_mul_hi_u32 v4, v23, s8
	v_add_nc_u32_e32 v5, v19, v0
	v_mul_lo_u32 v10, v23, s5
	v_mul_lo_u32 v0, v28, s80
	v_sub_nc_u32_e32 v6, v26, v1
	v_sub_nc_u32_e32 v7, v21, v2
	v_lshrrev_b32_e32 v5, s58, v5
	v_mul_lo_u32 v1, v3, s78
	v_add_nc_u32_e32 v2, v23, v4
	v_sub_nc_u32_e32 v9, v27, v9
	s_sub_i32 s8, s36, s37
	v_mul_hi_u32 v4, v5, s29
	v_sub_nc_u32_e32 v10, v22, v10
	v_lshrrev_b32_e32 v8, s64, v2
	v_mul_lo_u32 v2, v7, s76
	s_mul_i32 s8, s8, s83
	v_mad_u64_u32 v[20:21], null, v9, s81, v[0:1]
	s_delay_alu instid0(VALU_DEP_3)
	v_mul_lo_u32 v11, v8, s4
	v_add_nc_u32_e32 v4, v5, v4
	s_add_i32 s7, s7, s8
	s_load_b32 s5, s[0:1], 0x74
	s_lshl_b32 s15, s7, 7
	v_mad_u64_u32 v[21:22], null, v10, s77, v[2:3]
	v_lshrrev_b32_e32 v4, s57, v4
	s_delay_alu instid0(VALU_DEP_4) | instskip(SKIP_3) | instid1(VALU_DEP_4)
	v_sub_nc_u32_e32 v11, v23, v11
	v_or_b32_e32 v29, s15, v24
	v_mad_u64_u32 v[74:75], null, s67, 12, v[19:20]
	v_mov_b32_e32 v14, v37
	v_mad_u64_u32 v[22:23], null, v11, s79, v[1:2]
	v_mul_hi_u32 v2, v4, s28
	v_mad_u64_u32 v[0:1], null, v29, s3, v[18:19]
	v_add_nc_u32_e32 v75, s42, v74
	v_subrev_nc_u32_e32 v1, s20, v21
	s_clause 0x5
	scratch_store_b128 off, v[12:15], off offset:128
	scratch_store_b128 off, v[38:41], off offset:368
	;; [unrolled: 1-line block ×3, first 2 shown]
	scratch_store_b8 off, v34, off offset:409
	scratch_store_b64 off, v[16:17], off offset:432
	scratch_store_b8 off, v34, off offset:441
	v_add_nc_u32_e32 v2, v4, v2
	v_mul_lo_u32 v12, v1, s50
	v_mul_lo_u32 v1, v4, s25
	v_mov_b32_e32 v16, 0x6000
	scratch_store_b8 off, v34, off offset:425
	v_lshrrev_b32_e32 v23, s56, v2
	v_mul_lo_u32 v2, v5, s26
	s_clause 0x1
	scratch_store_b64 off, v[16:17], off offset:448
	scratch_store_b8 off, v34, off offset:457
	s_waitcnt lgkmcnt(0)
	s_sub_i32 s39, s22, s5
	v_mul_lo_u32 v13, v23, s24
	v_sub_nc_u32_e32 v30, v5, v1
	v_sub_nc_u32_e32 v1, v23, v3
	v_cmp_le_i32_e64 s7, s23, v20
	v_sub_nc_u32_e32 v16, v19, v2
	v_cmp_gt_i32_e64 s8, s39, v20
	v_sub_nc_u32_e32 v2, v30, v28
	v_mul_lo_u32 v28, v1, s78
	v_sub_nc_u32_e32 v17, v4, v13
	v_cmp_gt_i32_e64 s3, s31, v26
	s_sub_i32 s37, s16, s18
	v_mul_lo_u32 v31, v2, s80
	v_cmp_gt_i32_e64 s5, s31, v19
	v_sub_nc_u32_e32 v5, v17, v7
	s_and_b32 s16, s7, s8
	v_cmp_le_i32_e64 s7, s20, v21
	v_cmp_gt_i32_e64 s8, s38, v21
	v_add_nc_u32_e32 v79, v22, v28
	v_mul_lo_u32 v32, v5, s76
	v_add_nc_u32_e32 v77, v20, v31
	v_subrev_nc_u32_e32 v10, s23, v20
	v_mul_lo_u32 v9, v6, s14
	v_subrev_nc_u32_e32 v11, s17, v22
	v_sub_nc_u32_e32 v4, v16, v6
	v_cmp_le_i32_e64 s9, s23, v77
	v_cmp_gt_i32_e64 s10, s39, v77
	v_add_nc_u32_e32 v78, v21, v32
	v_mul_lo_u32 v10, v10, s51
	v_cmp_gt_i32_e64 s4, s59, v18
	v_cmp_gt_i32_e32 vcc_lo, s82, v29
	s_and_b32 s9, s9, s10
	s_and_b32 s10, s3, s16
	;; [unrolled: 1-line block ×4, first 2 shown]
	v_cmp_le_i32_e64 s3, s20, v78
	v_cmp_gt_i32_e64 s5, s38, v78
	v_cmp_le_i32_e64 s7, s17, v22
	v_cmp_gt_i32_e64 s8, s37, v22
	s_and_b32 s18, s10, s9
	v_cmp_le_i32_e64 s9, s17, v79
	v_cmp_gt_i32_e64 s10, s37, v79
	s_and_b32 s3, s3, s5
	s_lshl_b32 s36, s11, 2
	s_and_b32 s5, s7, s8
	s_and_b32 s7, s16, s3
	;; [unrolled: 1-line block ×3, first 2 shown]
	v_mul_lo_u32 v8, v8, s48
	v_mul_lo_u32 v11, v11, s49
	v_mul_lo_u32 v13, v28, s49
	v_mul_lo_u32 v14, v31, s51
	v_mul_lo_u32 v15, v4, s14
	s_and_b32 s3, s4, vcc_lo
	s_and_b32 s4, s7, s8
	s_mov_b64 s[8:9], src_private_base
	v_add_nc_u32_e32 v36, s36, v0
	v_add3_u32 v9, v10, v9, v12
	buffer_load_b128 v[0:3], v0, s[52:55], 0 offen
	v_mul_lo_u32 v10, v32, s50
	v_add_nc_u32_e32 v76, s36, v18
	buffer_load_b128 v[4:7], v36, s[52:55], 0 offen
	v_add3_u32 v8, v9, v8, v11
	v_add3_u32 v9, v14, v15, v13
	v_lshlrev_b32_e32 v24, 2, v24
	v_cmp_gt_i32_e64 s6, s59, v76
	s_and_b32 s5, s18, s5
	s_mul_i32 s11, s11, 12
	v_add3_u32 v42, v9, v10, v8
	s_clause 0x1
	buffer_load_b128 v[8:11], v8, s[44:47], 0 offen
	buffer_load_b128 v[12:15], v42, s[44:47], 0 offen
	v_lshl_or_b32 v34, v25, 9, v24
	v_cmp_gt_i32_e64 s8, s31, v75
	s_waitcnt vmcnt(3)
	v_cndmask_b32_e64 v3, 0, v3, s3
	v_cndmask_b32_e64 v2, 0, v2, s3
	;; [unrolled: 1-line block ×4, first 2 shown]
	s_and_b32 s3, s6, vcc_lo
	s_waitcnt vmcnt(2)
	v_cndmask_b32_e64 v4, 0, v4, s3
	v_cndmask_b32_e64 v5, 0, v5, s3
	v_perm_b32 v0, v0, v0, 0x3020104
	v_perm_b32 v2, v2, v2, 0x3020104
	v_cndmask_b32_e64 v6, 0, v6, s3
	v_perm_b32 v4, v4, v4, 0x3020104
	v_cndmask_b32_e64 v7, 0, v7, s3
	s_and_b32 s3, s2, s5
	ds_store_2addr_stride64_b32 v34, v0, v1 offset0:64 offset1:66
	ds_store_2addr_stride64_b32 v34, v2, v3 offset0:68 offset1:70
	s_waitcnt vmcnt(1)
	v_cndmask_b32_e64 v1, 0, v11, s3
	ds_store_2addr_stride64_b32 v34, v4, v5 offset0:72 offset1:74
	v_cndmask_b32_e64 v2, 0, v10, s3
	v_cndmask_b32_e64 v3, 0, v9, s3
	;; [unrolled: 1-line block ×3, first 2 shown]
	s_and_b32 s3, s2, s4
	v_perm_b32 v0, v6, v6, 0x3020104
	s_waitcnt vmcnt(0)
	v_cndmask_b32_e64 v6, 0, v12, s3
	v_cndmask_b32_e64 v8, 0, v14, s3
	v_perm_b32 v4, v4, v4, 0x3020104
	v_perm_b32 v2, v2, v2, 0x3020104
	v_cndmask_b32_e64 v9, 0, v13, s3
	v_perm_b32 v6, v6, v6, 0x3020104
	v_cndmask_b32_e64 v5, 0, v15, s3
	v_perm_b32 v8, v8, v8, 0x3020104
	ds_store_2addr_stride64_b32 v34, v0, v7 offset0:76 offset1:78
	ds_store_2addr_stride64_b32 v34, v4, v3 offset1:2
	ds_store_2addr_stride64_b32 v34, v2, v1 offset0:4 offset1:6
	ds_store_2addr_stride64_b32 v34, v6, v9 offset0:8 offset1:10
	;; [unrolled: 1-line block ×3, first 2 shown]
	s_waitcnt lgkmcnt(0)
	s_waitcnt_vscnt null, 0x0
	s_barrier
	s_clause 0x2
	scratch_load_b32 v6, off, off offset:80
	scratch_load_b32 v7, off, off offset:112
	scratch_load_b64 v[4:5], off, off offset:416
	v_mul_hi_u32 v12, v74, s30
	v_mul_hi_u32 v13, v75, s30
	s_delay_alu instid0(VALU_DEP_2) | instskip(NEXT) | instid1(VALU_DEP_2)
	v_add_nc_u32_e32 v12, v74, v12
	v_add_nc_u32_e32 v13, v75, v13
	s_delay_alu instid0(VALU_DEP_2) | instskip(NEXT) | instid1(VALU_DEP_2)
	v_lshrrev_b32_e32 v14, s58, v12
	v_lshrrev_b32_e32 v18, s58, v13
	s_delay_alu instid0(VALU_DEP_2) | instskip(NEXT) | instid1(VALU_DEP_2)
	v_mul_hi_u32 v12, v14, s29
	v_mul_hi_u32 v13, v18, s29
	v_mul_lo_u32 v15, v14, s26
	s_delay_alu instid0(VALU_DEP_3) | instskip(NEXT) | instid1(VALU_DEP_3)
	v_add_nc_u32_e32 v12, v14, v12
	v_add_nc_u32_e32 v13, v18, v13
	s_delay_alu instid0(VALU_DEP_2) | instskip(NEXT) | instid1(VALU_DEP_2)
	v_lshrrev_b32_e32 v19, s57, v12
	v_lshrrev_b32_e32 v20, s57, v13
	s_delay_alu instid0(VALU_DEP_2) | instskip(SKIP_1) | instid1(VALU_DEP_3)
	v_mul_hi_u32 v12, v19, s28
	v_mul_lo_u32 v13, v19, s25
	v_mul_hi_u32 v22, v20, s28
	s_delay_alu instid0(VALU_DEP_3) | instskip(NEXT) | instid1(VALU_DEP_3)
	v_add_nc_u32_e32 v21, v19, v12
	v_sub_nc_u32_e32 v13, v14, v13
	v_sub_nc_u32_e32 v12, v74, v15
	s_delay_alu instid0(VALU_DEP_4) | instskip(NEXT) | instid1(VALU_DEP_4)
	v_add_nc_u32_e32 v22, v20, v22
	v_lshrrev_b32_e32 v21, s56, v21
	s_delay_alu instid0(VALU_DEP_4) | instskip(SKIP_2) | instid1(VALU_DEP_4)
	v_mad_u64_u32 v[14:15], null, v20, s25, v[13:14]
	v_sub_nc_u32_e32 v13, v13, v30
	v_sub_nc_u32_e32 v24, v12, v16
	v_mul_lo_u32 v25, v21, s24
	s_delay_alu instid0(VALU_DEP_3)
	v_mad_u64_u32 v[15:16], null, v18, s26, v[12:13]
	v_lshrrev_b32_e32 v16, s56, v22
	v_mul_lo_u32 v80, v13, s80
	v_sub_nc_u32_e32 v18, v18, v14
	v_sub_nc_u32_e32 v12, v19, v25
	;; [unrolled: 1-line block ×4, first 2 shown]
	s_delay_alu instid0(VALU_DEP_4) | instskip(NEXT) | instid1(VALU_DEP_4)
	v_mul_lo_u32 v82, v18, s80
	v_mad_u64_u32 v[13:14], null, v16, s24, v[12:13]
	v_sub_nc_u32_e32 v14, v16, v21
	v_sub_nc_u32_e32 v12, v12, v17
	v_mul_lo_u32 v81, v19, s78
	v_mul_lo_u32 v15, v15, s14
	s_delay_alu instid0(VALU_DEP_4) | instskip(NEXT) | instid1(VALU_DEP_4)
	v_mul_lo_u32 v83, v14, s78
	v_mul_lo_u32 v84, v12, s76
	v_sub_nc_u32_e32 v12, v20, v13
	v_mul_lo_u32 v13, v24, s14
	v_mul_lo_u32 v14, v80, s51
	;; [unrolled: 1-line block ×3, first 2 shown]
	v_add_nc_u32_e32 v20, s11, v36
	v_mul_lo_u32 v85, v12, s76
	v_mul_lo_u32 v12, v82, s51
	;; [unrolled: 1-line block ×4, first 2 shown]
	v_add_nc_u32_e32 v24, s36, v20
	v_add3_u32 v13, v14, v13, v16
	v_mul_lo_u32 v14, v85, s50
	v_add3_u32 v12, v12, v15, v17
	s_delay_alu instid0(VALU_DEP_3) | instskip(NEXT) | instid1(VALU_DEP_1)
	v_add3_u32 v13, v13, v18, v42
	v_add3_u32 v16, v12, v14, v13
	s_waitcnt vmcnt(2)
	ds_load_b128 v[0:3], v6
	s_waitcnt vmcnt(1)
	v_ashrrev_i32_e32 v8, 31, v7
	s_waitcnt vmcnt(0)
	v_add_co_u32 v32, s3, v4, v7
	s_clause 0x1
	scratch_store_b128 off, v[38:41], off offset:32
	scratch_store_b128 off, v[38:41], off offset:48
	v_add_co_ci_u32_e64 v33, s3, v5, v8, s3
	ds_load_b128 v[4:7], v6 offset:256
	scratch_store_b128 off, v[38:41], off offset:16
	s_waitcnt lgkmcnt(1)
	scratch_store_b128 off, v[0:3], off
	flat_load_b128 v[8:11], v[32:33]
	s_clause 0x1
	buffer_load_b128 v[12:15], v13, s[44:47], 0 offen
	buffer_load_b128 v[16:19], v16, s[44:47], 0 offen
	s_clause 0x1
	buffer_load_b128 v[20:23], v20, s[52:55], 0 offen
	buffer_load_b128 v[24:27], v24, s[52:55], 0 offen
	s_clause 0x3
	scratch_load_b128 v[28:31], off, off offset:144
	scratch_load_b128 v[42:45], off, off offset:176
	;; [unrolled: 1-line block ×4, first 2 shown]
	s_waitcnt vmcnt(8) lgkmcnt(0)
	scratch_store_b128 off, v[8:11], off offset:32
	flat_load_b128 v[54:57], v[32:33] offset:256
	s_clause 0x3
	scratch_load_b128 v[58:61], off, off offset:160
	scratch_load_b128 v[62:65], off, off offset:192
	;; [unrolled: 1-line block ×4, first 2 shown]
	v_add_nc_u32_e32 v32, s11, v76
	v_add_nc_u32_e32 v33, v77, v80
	s_clause 0x5
	s_load_b32 s22, s[0:1], 0x1e8
	s_load_b32 s42, s[0:1], 0x210
	s_load_b64 s[18:19], s[0:1], 0x220
	s_load_b32 s16, s[0:1], 0x22c
	s_load_b32 s21, s[0:1], 0x238
	;; [unrolled: 1-line block ×3, first 2 shown]
	s_getpc_b64 s[10:11]
	s_add_u32 s10, s10, _ZNK2ck6detail15static_for_implINS_8SequenceIJLi1ELi2ELi3ELi4ELi5ELi6ELi7ELi8ELi9ELi10ELi11ELi12ELi13ELi14ELi15EEEEEclIZNKS_80BlockwiseGemmDl_A_BK0_BM_BK1_B_BK0_BN_BK1_C_BM0_BM1_BN0_BN1_pipeline_BM0_2_BN0_2ILi256EaaiKNS_16TensorDescriptorINS_5TupleIJNS_5EmbedINS8_IJNS_17integral_constantIiLi16EEENSA_IiLi128EEENSA_IiLi4EEEEEENS8_IJNSA_IiLi512EEESD_NSA_IiLi1EEEEEELb0EEEEEENS8_IJNS2_IJLi0EEEEEEENS8_IJNS2_IJLi1ELi2ELi3EEEEEEESM_NSA_IlLl8192EEEEESQ_Li4ELi4ELi1ENS2_IJLi8ELi2EEEESR_Li4ELi4ELb0EE3RunINS7_INS8_IJNS_7UnMergeINS8_IJNSA_IiLi2EEESD_SV_SD_EEELb0EEEEEESL_NS8_IJNS2_IJLi1ELi2ELi3ELi4EEEEEEESZ_NSA_IlLl64EEEEENS_13DynamicBufferILNS_16AddressSpaceEnumE2EaSO_Lb1ELNS_22AmdBufferCoherenceEnumE0EiEES16_NS_12StaticBufferILS14_4EiLi64ELb1EEEEEvRKT_RKT0_RKT1_RT2_EUlS19_E_EEvS19_@rel32@lo+4
	s_addc_u32 s11, s11, _ZNK2ck6detail15static_for_implINS_8SequenceIJLi1ELi2ELi3ELi4ELi5ELi6ELi7ELi8ELi9ELi10ELi11ELi12ELi13ELi14ELi15EEEEEclIZNKS_80BlockwiseGemmDl_A_BK0_BM_BK1_B_BK0_BN_BK1_C_BM0_BM1_BN0_BN1_pipeline_BM0_2_BN0_2ILi256EaaiKNS_16TensorDescriptorINS_5TupleIJNS_5EmbedINS8_IJNS_17integral_constantIiLi16EEENSA_IiLi128EEENSA_IiLi4EEEEEENS8_IJNSA_IiLi512EEESD_NSA_IiLi1EEEEEELb0EEEEEENS8_IJNS2_IJLi0EEEEEEENS8_IJNS2_IJLi1ELi2ELi3EEEEEEESM_NSA_IlLl8192EEEEESQ_Li4ELi4ELi1ENS2_IJLi8ELi2EEEESR_Li4ELi4ELb0EE3RunINS7_INS8_IJNS_7UnMergeINS8_IJNSA_IiLi2EEESD_SV_SD_EEELb0EEEEEESL_NS8_IJNS2_IJLi1ELi2ELi3ELi4EEEEEEESZ_NSA_IlLl64EEEEENS_13DynamicBufferILNS_16AddressSpaceEnumE2EaSO_Lb1ELNS_22AmdBufferCoherenceEnumE0EiEES16_NS_12StaticBufferILS14_4EiLi64ELb1EEEEEvRKT_RKT0_RKT1_RT2_EUlS19_E_EEvS19_@rel32@hi+12
	v_cmp_gt_i32_e64 s1, s31, v74
	v_cmp_gt_i32_e64 s0, s59, v32
	v_add_nc_u32_e32 v32, s36, v32
	v_add_nc_u32_e32 v36, v33, v82
	v_cmp_le_i32_e64 s3, s23, v33
	v_cmp_gt_i32_e64 s4, s39, v33
	v_add_nc_u32_e32 v33, v78, v84
	v_cmp_gt_i32_e64 s7, s59, v32
	v_add_nc_u32_e32 v32, v79, v81
	v_cmp_le_i32_e64 s5, s23, v36
	v_cmp_gt_i32_e64 s6, s39, v36
	s_and_b32 s23, s3, s4
	v_cmp_le_i32_e64 s3, s20, v33
	v_cmp_gt_i32_e64 s4, s38, v33
	s_and_b32 s0, s0, vcc_lo
	s_and_b32 vcc_lo, s7, vcc_lo
	s_waitcnt vmcnt(9)
	v_dual_cndmask_b32 v88, 0, v24 :: v_dual_add_nc_u32 v33, v33, v85
	v_add_nc_u32_e32 v36, v32, v83
	s_and_b32 s5, s5, s6
	s_and_b32 s23, s1, s23
	;; [unrolled: 1-line block ×4, first 2 shown]
	v_cmp_le_i32_e64 s1, s20, v33
	v_cmp_gt_i32_e64 s3, s38, v33
	v_cmp_le_i32_e64 s4, s17, v32
	v_cmp_gt_i32_e64 s5, s37, v32
	;; [unrolled: 2-line block ×3, first 2 shown]
	s_and_b32 s1, s1, s3
	s_and_b32 s3, s23, s25
	;; [unrolled: 1-line block ×8, first 2 shown]
	v_cndmask_b32_e32 v85, 0, v27, vcc_lo
	v_cndmask_b32_e64 v36, 0, v15, s1
	v_cndmask_b32_e64 v74, 0, v14, s1
	;; [unrolled: 1-line block ×4, first 2 shown]
	s_and_b32 s1, s2, s4
	s_waitcnt vmcnt(8)
	v_dot4_i32_iu8 v12, v0, v8, v28 neg_lo:[1,1,0]
	v_dot4_i32_iu8 v13, v0, v9, v29 neg_lo:[1,1,0]
	;; [unrolled: 1-line block ×4, first 2 shown]
	v_cndmask_b32_e64 v77, 0, v19, s1
	v_cndmask_b32_e64 v78, 0, v18, s1
	;; [unrolled: 1-line block ×4, first 2 shown]
	s_waitcnt vmcnt(7)
	v_dot4_i32_iu8 v16, v1, v8, v42 neg_lo:[1,1,0]
	v_dot4_i32_iu8 v17, v1, v9, v43 neg_lo:[1,1,0]
	;; [unrolled: 1-line block ×4, first 2 shown]
	v_dual_cndmask_b32 v86, 0, v26 :: v_dual_cndmask_b32 v87, 0, v25
	v_cndmask_b32_e64 v81, 0, v23, s0
	v_cndmask_b32_e64 v82, 0, v22, s0
	;; [unrolled: 1-line block ×4, first 2 shown]
	s_waitcnt vmcnt(6)
	v_dot4_i32_iu8 v20, v2, v8, v46 neg_lo:[1,1,0]
	v_dot4_i32_iu8 v21, v2, v9, v47 neg_lo:[1,1,0]
	;; [unrolled: 1-line block ×4, first 2 shown]
	s_waitcnt vmcnt(5)
	v_dot4_i32_iu8 v8, v3, v8, v50 neg_lo:[1,1,0]
	v_dot4_i32_iu8 v9, v3, v9, v51 neg_lo:[1,1,0]
	;; [unrolled: 1-line block ×4, first 2 shown]
	scratch_store_b128 off, v[4:7], off offset:16
	s_waitcnt vmcnt(4) lgkmcnt(0)
	scratch_store_b128 off, v[54:57], off offset:48
	s_waitcnt vmcnt(3)
	v_dot4_i32_iu8 v4, v0, v54, v58 neg_lo:[1,1,0]
	v_dot4_i32_iu8 v5, v0, v55, v59 neg_lo:[1,1,0]
	v_dot4_i32_iu8 v6, v0, v56, v60 neg_lo:[1,1,0]
	v_dot4_i32_iu8 v7, v0, v57, v61 neg_lo:[1,1,0]
	s_waitcnt vmcnt(2)
	v_dot4_i32_iu8 v24, v1, v54, v62 neg_lo:[1,1,0]
	v_dot4_i32_iu8 v25, v1, v55, v63 neg_lo:[1,1,0]
	v_dot4_i32_iu8 v26, v1, v56, v64 neg_lo:[1,1,0]
	v_dot4_i32_iu8 v27, v1, v57, v65 neg_lo:[1,1,0]
	s_waitcnt vmcnt(1)
	v_dot4_i32_iu8 v28, v2, v54, v66 neg_lo:[1,1,0]
	v_dot4_i32_iu8 v29, v2, v55, v67 neg_lo:[1,1,0]
	v_dot4_i32_iu8 v30, v2, v56, v68 neg_lo:[1,1,0]
	v_dot4_i32_iu8 v31, v2, v57, v69 neg_lo:[1,1,0]
	s_waitcnt vmcnt(0)
	v_dot4_i32_iu8 v0, v3, v54, v70 neg_lo:[1,1,0]
	v_dot4_i32_iu8 v1, v3, v55, v71 neg_lo:[1,1,0]
	v_dot4_i32_iu8 v2, v3, v56, v72 neg_lo:[1,1,0]
	v_dot4_i32_iu8 v3, v3, v57, v73 neg_lo:[1,1,0]
	s_clause 0x7
	scratch_store_b128 off, v[12:15], off offset:144
	scratch_store_b128 off, v[4:7], off offset:160
	;; [unrolled: 1-line block ×8, first 2 shown]
	v_mov_b32_e32 v0, 64
	v_mov_b32_e32 v2, 0x190
	;; [unrolled: 1-line block ×5, first 2 shown]
	v_dual_mov_b32 v10, 0x1a0 :: v_dual_mov_b32 v1, s9
	v_mov_b32_e32 v3, s9
	v_mov_b32_e32 v5, s9
	;; [unrolled: 1-line block ×5, first 2 shown]
	s_swappc_b64 s[30:31], s[10:11]
	s_clause 0xe
	scratch_load_b32 v54, off, off offset:16
	scratch_load_b32 v55, off, off offset:32
	scratch_load_b128 v[0:3], off, off offset:272
	scratch_load_b128 v[4:7], off, off offset:32
	;; [unrolled: 1-line block ×6, first 2 shown]
	scratch_load_b32 v8, off, off offset:48
	scratch_load_b128 v[24:27], off, off offset:288
	scratch_load_b128 v[28:31], off, off offset:48
	scratch_load_b128 v[42:45], off, off offset:320
	scratch_load_b128 v[46:49], off, off offset:352
	scratch_load_b128 v[50:53], off, off offset:384
	scratch_load_b64 v[32:33], off, off offset:432
	v_perm_b32 v56, v76, v76, 0x3020104
	v_perm_b32 v57, v74, v74, 0x3020104
	;; [unrolled: 1-line block ×4, first 2 shown]
	s_waitcnt vmcnt(12)
	v_dot4_i32_iu8 v0, v54, v55, v0 neg_lo:[1,1,0]
	s_waitcnt vmcnt(11)
	v_dot4_i32_iu8 v1, v54, v5, v1 neg_lo:[1,1,0]
	v_dot4_i32_iu8 v2, v54, v6, v2 neg_lo:[1,1,0]
	v_dot4_i32_iu8 v3, v54, v7, v3 neg_lo:[1,1,0]
	s_waitcnt vmcnt(9)
	v_dot4_i32_iu8 v13, v9, v5, v13 neg_lo:[1,1,0]
	v_dot4_i32_iu8 v14, v9, v6, v14 neg_lo:[1,1,0]
	;; [unrolled: 4-line block ×4, first 2 shown]
	v_dot4_i32_iu8 v6, v11, v6, v22 neg_lo:[1,1,0]
	v_dot4_i32_iu8 v7, v11, v7, v23 neg_lo:[1,1,0]
	s_waitcnt vmcnt(5)
	v_dot4_i32_iu8 v20, v54, v8, v24 neg_lo:[1,1,0]
	s_waitcnt vmcnt(4)
	v_dot4_i32_iu8 v21, v54, v29, v25 neg_lo:[1,1,0]
	v_dot4_i32_iu8 v22, v54, v30, v26 neg_lo:[1,1,0]
	v_dot4_i32_iu8 v23, v54, v31, v27 neg_lo:[1,1,0]
	v_dot4_i32_iu8 v12, v9, v55, v12 neg_lo:[1,1,0]
	s_waitcnt vmcnt(3)
	v_dot4_i32_iu8 v24, v9, v8, v42 neg_lo:[1,1,0]
	v_dot4_i32_iu8 v25, v9, v29, v43 neg_lo:[1,1,0]
	;; [unrolled: 1-line block ×4, first 2 shown]
	s_waitcnt vmcnt(0)
	v_add_co_u32 v28, vcc_lo, v32, v34
	v_dot4_i32_iu8 v16, v10, v55, v16 neg_lo:[1,1,0]
	v_dot4_i32_iu8 v42, v10, v8, v46 neg_lo:[1,1,0]
	;; [unrolled: 1-line block ×9, first 2 shown]
	v_add_co_ci_u32_e32 v29, vcc_lo, 0, v33, vcc_lo
	s_clause 0x7
	scratch_store_b128 off, v[0:3], off offset:272
	scratch_store_b128 off, v[20:23], off offset:288
	;; [unrolled: 1-line block ×8, first 2 shown]
	s_clause 0x7
	flat_store_b32 v[28:29], v56
	flat_store_b32 v[28:29], v75 offset:512
	flat_store_b32 v[28:29], v57 offset:1024
	;; [unrolled: 1-line block ×7, first 2 shown]
	scratch_load_b64 v[4:5], off, off offset:448
	v_perm_b32 v2, v84, v84, 0x3020104
	v_perm_b32 v3, v82, v82, 0x3020104
	;; [unrolled: 1-line block ×4, first 2 shown]
	s_waitcnt vmcnt(0)
	v_add_co_u32 v0, vcc_lo, v4, v34
	v_add_co_ci_u32_e32 v1, vcc_lo, 0, v5, vcc_lo
	s_clause 0x7
	flat_store_b32 v[0:1], v2
	flat_store_b32 v[0:1], v83 offset:512
	flat_store_b32 v[0:1], v3 offset:1024
	;; [unrolled: 1-line block ×7, first 2 shown]
	s_waitcnt lgkmcnt(0)
	s_waitcnt_vscnt null, 0x0
	s_barrier
	s_clause 0x1
	scratch_load_b32 v0, off, off offset:80
	scratch_load_b32 v6, off, off offset:112
	s_clause 0x3
	scratch_store_b128 off, v[38:41], off
	scratch_store_b128 off, v[38:41], off offset:16
	scratch_store_b128 off, v[38:41], off offset:32
	;; [unrolled: 1-line block ×3, first 2 shown]
	s_waitcnt vmcnt(1)
	v_ashrrev_i32_e32 v1, 31, v0
	v_add_co_u32 v32, vcc_lo, v32, v0
	s_waitcnt vmcnt(0)
	v_ashrrev_i32_e32 v7, 31, v6
	s_delay_alu instid0(VALU_DEP_3) | instskip(SKIP_1) | instid1(VALU_DEP_3)
	v_add_co_ci_u32_e32 v33, vcc_lo, v33, v1, vcc_lo
	v_add_co_u32 v8, vcc_lo, v4, v6
	v_add_co_ci_u32_e32 v9, vcc_lo, v5, v7, vcc_lo
	flat_load_b128 v[0:3], v[32:33]
	s_waitcnt vmcnt(0) lgkmcnt(0)
	scratch_store_b128 off, v[0:3], off
	flat_load_b128 v[4:7], v[8:9]
	s_waitcnt vmcnt(0) lgkmcnt(0)
	scratch_store_b128 off, v[4:7], off offset:32
	flat_load_b128 v[8:11], v[8:9] offset:256
	s_clause 0x7
	scratch_load_b128 v[12:15], off, off offset:144
	scratch_load_b128 v[16:19], off, off offset:176
	;; [unrolled: 1-line block ×8, first 2 shown]
	s_waitcnt vmcnt(8) lgkmcnt(0)
	scratch_store_b128 off, v[8:11], off offset:48
	flat_load_b128 v[50:53], v[32:33] offset:256
	s_waitcnt vmcnt(8)
	v_dot4_i32_iu8 v12, v0, v4, v12 neg_lo:[1,1,0]
	v_dot4_i32_iu8 v13, v0, v5, v13 neg_lo:[1,1,0]
	v_dot4_i32_iu8 v14, v0, v6, v14 neg_lo:[1,1,0]
	v_dot4_i32_iu8 v15, v0, v7, v15 neg_lo:[1,1,0]
	s_waitcnt vmcnt(7)
	v_dot4_i32_iu8 v16, v1, v4, v16 neg_lo:[1,1,0]
	v_dot4_i32_iu8 v17, v1, v5, v17 neg_lo:[1,1,0]
	v_dot4_i32_iu8 v18, v1, v6, v18 neg_lo:[1,1,0]
	v_dot4_i32_iu8 v19, v1, v7, v19 neg_lo:[1,1,0]
	;; [unrolled: 5-line block ×8, first 2 shown]
	v_dual_mov_b32 v8, 0x90 :: v_dual_mov_b32 v9, s9
	v_dual_mov_b32 v10, 0x1c0 :: v_dual_mov_b32 v11, s9
	s_clause 0x7
	scratch_store_b128 off, v[12:15], off offset:144
	scratch_store_b128 off, v[24:27], off offset:160
	;; [unrolled: 1-line block ×8, first 2 shown]
	s_waitcnt vmcnt(0) lgkmcnt(0)
	scratch_store_b128 off, v[50:53], off offset:16
	v_dual_mov_b32 v0, 64 :: v_dual_mov_b32 v1, s9
	v_dual_mov_b32 v2, 0x1b0 :: v_dual_mov_b32 v3, s9
	;; [unrolled: 1-line block ×4, first 2 shown]
	s_swappc_b64 s[30:31], s[10:11]
	s_clause 0xd
	scratch_load_b32 v36, off, off offset:16
	scratch_load_b32 v62, off, off offset:32
	scratch_load_b128 v[0:3], off, off offset:272
	scratch_load_b128 v[4:7], off, off offset:32
	;; [unrolled: 1-line block ×6, first 2 shown]
	scratch_load_b32 v38, off, off offset:48
	scratch_load_b128 v[28:31], off, off offset:288
	scratch_load_b128 v[42:45], off, off offset:48
	;; [unrolled: 1-line block ×5, first 2 shown]
	v_add_nc_u32_e32 v53, s33, v35
	v_add_nc_u32_e32 v52, s15, v37
	s_mov_b32 s43, s47
	s_lshl_b32 s3, s35, 6
	s_lshl_b32 s17, s19, 6
	s_waitcnt vmcnt(10)
	v_mul_lo_u32 v4, v53, s34
	v_cmp_gt_i32_e64 s0, s22, v52
	v_cmp_gt_i32_e64 s1, s27, v53
	s_add_i32 s2, s3, s34
	s_mov_b32 s15, s47
	s_lshl_b32 s20, s18, 6
	s_delay_alu instid0(VALU_DEP_1)
	s_and_b32 vcc_lo, s1, s0
	v_dot4_i32_iu8 v32, v36, v62, v0 neg_lo:[1,1,0]
	v_mad_u64_u32 v[50:51], null, v52, s35, v[4:5]
	v_dot4_i32_iu8 v33, v36, v5, v1 neg_lo:[1,1,0]
	v_dot4_i32_iu8 v34, v36, v6, v2 neg_lo:[1,1,0]
	;; [unrolled: 1-line block ×3, first 2 shown]
	s_waitcnt vmcnt(4)
	v_dot4_i32_iu8 v28, v36, v38, v28 neg_lo:[1,1,0]
	s_waitcnt vmcnt(3)
	v_dot4_i32_iu8 v29, v36, v43, v29 neg_lo:[1,1,0]
	v_dot4_i32_iu8 v30, v36, v44, v30 neg_lo:[1,1,0]
	v_dot4_i32_iu8 v31, v36, v45, v31 neg_lo:[1,1,0]
	v_dot4_i32_iu8 v24, v39, v62, v8 neg_lo:[1,1,0]
	v_dot4_i32_iu8 v25, v39, v5, v9 neg_lo:[1,1,0]
	v_dot4_i32_iu8 v26, v39, v6, v10 neg_lo:[1,1,0]
	v_dot4_i32_iu8 v27, v39, v7, v11 neg_lo:[1,1,0]
	v_dot4_i32_iu8 v8, v41, v62, v20 neg_lo:[1,1,0]
	v_dot4_i32_iu8 v9, v41, v5, v21 neg_lo:[1,1,0]
	v_dot4_i32_iu8 v10, v41, v6, v22 neg_lo:[1,1,0]
	v_dot4_i32_iu8 v11, v41, v7, v23 neg_lo:[1,1,0]
	s_waitcnt vmcnt(2)
	v_dot4_i32_iu8 v20, v39, v38, v46 neg_lo:[1,1,0]
	v_dot4_i32_iu8 v21, v39, v43, v47 neg_lo:[1,1,0]
	v_dot4_i32_iu8 v22, v39, v44, v48 neg_lo:[1,1,0]
	v_dot4_i32_iu8 v23, v39, v45, v49 neg_lo:[1,1,0]
	v_dot4_i32_iu8 v16, v40, v62, v12 neg_lo:[1,1,0]
	v_dot4_i32_iu8 v17, v40, v5, v13 neg_lo:[1,1,0]
	v_dot4_i32_iu8 v18, v40, v6, v14 neg_lo:[1,1,0]
	v_dot4_i32_iu8 v19, v40, v7, v15 neg_lo:[1,1,0]
	s_waitcnt vmcnt(1)
	v_dot4_i32_iu8 v12, v40, v38, v54 neg_lo:[1,1,0]
	v_dot4_i32_iu8 v13, v40, v43, v55 neg_lo:[1,1,0]
	;; [unrolled: 1-line block ×4, first 2 shown]
	s_waitcnt vmcnt(0)
	v_dot4_i32_iu8 v4, v41, v38, v58 neg_lo:[1,1,0]
	v_dot4_i32_iu8 v5, v41, v43, v59 neg_lo:[1,1,0]
	v_dot4_i32_iu8 v6, v41, v44, v60 neg_lo:[1,1,0]
	v_dot4_i32_iu8 v7, v41, v45, v61 neg_lo:[1,1,0]
	s_clause 0x7
	scratch_store_b128 off, v[32:35], off offset:272
	scratch_store_b128 off, v[28:31], off offset:288
	;; [unrolled: 1-line block ×8, first 2 shown]
	buffer_load_b32 v36, v50, s[40:43], 0 offen
	scratch_load_b128 v[0:3], off, off offset:144
	s_waitcnt vmcnt(1)
	v_cndmask_b32_e32 v40, 0, v36, vcc_lo
	scratch_load_b128 v[36:39], off, off offset:160
	v_or_b32_e32 v55, 1, v53
	v_or_b32_e32 v68, 2, v53
	v_or_b32_e32 v69, 3, v53
	v_lshrrev_b32_e32 v41, 8, v40
	v_lshrrev_b32_e32 v42, 16, v40
	v_lshrrev_b32_e32 v43, 24, v40
	s_waitcnt vmcnt(1)
	v_add_nc_u16 v0, v40, v0
	v_add_nc_u32_e32 v40, s3, v50
	v_add_nc_u16 v1, v41, v1
	v_add_nc_u16 v2, v42, v2
	;; [unrolled: 1-line block ×3, first 2 shown]
	v_bfe_i32 v0, v0, 0, 8
	s_delay_alu instid0(VALU_DEP_4) | instskip(NEXT) | instid1(VALU_DEP_4)
	v_bfe_i32 v1, v1, 0, 8
	v_bfe_i32 v2, v2, 0, 8
	s_delay_alu instid0(VALU_DEP_4) | instskip(NEXT) | instid1(VALU_DEP_4)
	v_bfe_i32 v3, v3, 0, 8
	v_max_i16 v0, v0, 0
	s_delay_alu instid0(VALU_DEP_4) | instskip(NEXT) | instid1(VALU_DEP_4)
	v_max_i16 v1, v1, 0
	v_max_i16 v54, v2, 0
	s_delay_alu instid0(VALU_DEP_4) | instskip(NEXT) | instid1(VALU_DEP_4)
	v_max_i16 v3, v3, 0
	v_and_b32_e32 v0, 0xffff, v0
	s_delay_alu instid0(VALU_DEP_4) | instskip(NEXT) | instid1(VALU_DEP_4)
	v_and_b32_e32 v1, 0xffff, v1
	v_and_b32_e32 v2, 0xffff, v54
	s_delay_alu instid0(VALU_DEP_4) | instskip(SKIP_4) | instid1(VALU_DEP_2)
	v_and_b32_e32 v3, 0xffff, v3
	scratch_store_b128 off, v[0:3], off offset:144
	buffer_load_b32 v41, v40, s[40:43], 0 offen
	v_add_nc_u32_e32 v2, 64, v52
	v_lshlrev_b32_e32 v3, 24, v3
	v_cmp_gt_i32_e32 vcc_lo, s22, v2
	s_add_i32 s22, s19, s18
	s_and_b32 s1, s1, vcc_lo
	s_waitcnt vmcnt(0)
	v_cndmask_b32_e64 v41, 0, v41, s1
	s_lshl_b32 s1, s35, 7
	s_delay_alu instid0(SALU_CYCLE_1) | instskip(SKIP_1) | instid1(VALU_DEP_2)
	s_sub_i32 s4, s2, s1
	v_cmp_gt_i32_e64 s1, s27, v55
	v_lshrrev_b32_e32 v42, 8, v41
	v_lshrrev_b32_e32 v43, 16, v41
	;; [unrolled: 1-line block ×3, first 2 shown]
	v_add_nc_u16 v36, v41, v36
	s_and_b32 s2, s1, s0
	v_add_nc_u16 v37, v42, v37
	v_add_nc_u16 v38, v43, v38
	;; [unrolled: 1-line block ×3, first 2 shown]
	v_bfe_i32 v36, v36, 0, 8
	v_add_nc_u32_e32 v44, s4, v40
	v_bfe_i32 v37, v37, 0, 8
	v_bfe_i32 v38, v38, 0, 8
	;; [unrolled: 1-line block ×3, first 2 shown]
	v_max_i16 v36, v36, 0
	scratch_load_b128 v[40:43], off, off offset:176
	v_max_i16 v37, v37, 0
	v_max_i16 v38, v38, 0
	;; [unrolled: 1-line block ×3, first 2 shown]
	v_and_b32_e32 v36, 0xffff, v36
	s_and_b32 s1, s1, vcc_lo
	v_and_b32_e32 v37, 0xffff, v37
	v_and_b32_e32 v38, 0xffff, v38
	;; [unrolled: 1-line block ×3, first 2 shown]
	scratch_store_b128 off, v[36:39], off offset:160
	buffer_load_b32 v36, v44, s[40:43], 0 offen
	s_waitcnt vmcnt(0)
	v_cndmask_b32_e64 v45, 0, v36, s2
	scratch_load_b128 v[36:39], off, off offset:160
	v_lshrrev_b32_e32 v46, 8, v45
	v_lshrrev_b32_e32 v47, 16, v45
	;; [unrolled: 1-line block ×3, first 2 shown]
	v_add_nc_u16 v40, v45, v40
	s_delay_alu instid0(VALU_DEP_4) | instskip(NEXT) | instid1(VALU_DEP_4)
	v_add_nc_u16 v41, v46, v41
	v_add_nc_u16 v42, v47, v42
	s_delay_alu instid0(VALU_DEP_4) | instskip(NEXT) | instid1(VALU_DEP_4)
	v_add_nc_u16 v43, v48, v43
	v_bfe_i32 v40, v40, 0, 8
	v_add_nc_u32_e32 v48, s3, v44
	v_bfe_i32 v41, v41, 0, 8
	v_bfe_i32 v42, v42, 0, 8
	;; [unrolled: 1-line block ×3, first 2 shown]
	v_max_i16 v40, v40, 0
	scratch_load_b128 v[44:47], off, off offset:192
	v_max_i16 v41, v41, 0
	v_max_i16 v42, v42, 0
	;; [unrolled: 1-line block ×3, first 2 shown]
	v_and_b32_e32 v40, 0xffff, v40
	s_delay_alu instid0(VALU_DEP_4) | instskip(NEXT) | instid1(VALU_DEP_4)
	v_and_b32_e32 v41, 0xffff, v41
	v_and_b32_e32 v42, 0xffff, v42
	s_delay_alu instid0(VALU_DEP_4)
	v_and_b32_e32 v43, 0xffff, v43
	scratch_store_b128 off, v[40:43], off offset:176
	buffer_load_b32 v40, v48, s[40:43], 0 offen
	s_waitcnt vmcnt(2)
	v_lshlrev_b32_e32 v37, 8, v37
	v_lshlrev_b32_e32 v38, 16, v38
	v_lshlrev_b32_e32 v39, 24, v39
	s_delay_alu instid0(VALU_DEP_3) | instskip(NEXT) | instid1(VALU_DEP_3)
	v_perm_b32 v36, v37, v36, 0xc0c0500
	v_and_b32_e32 v37, 0xff0000, v38
	s_waitcnt vmcnt(0)
	v_cndmask_b32_e64 v49, 0, v40, s1
	scratch_load_b128 v[40:43], off, off offset:176
	v_cmp_gt_i32_e64 s1, s27, v68
	v_lshrrev_b32_e32 v50, 8, v49
	v_lshrrev_b32_e32 v51, 16, v49
	;; [unrolled: 1-line block ×3, first 2 shown]
	v_add_nc_u16 v44, v49, v44
	s_and_b32 s2, s1, s0
	v_add_nc_u16 v45, v50, v45
	v_add_nc_u16 v46, v51, v46
	;; [unrolled: 1-line block ×3, first 2 shown]
	v_bfe_i32 v44, v44, 0, 8
	v_add_nc_u32_e32 v56, s4, v48
	v_bfe_i32 v45, v45, 0, 8
	v_bfe_i32 v46, v46, 0, 8
	;; [unrolled: 1-line block ×3, first 2 shown]
	v_max_i16 v44, v44, 0
	scratch_load_b128 v[48:51], off, off offset:208
	v_max_i16 v45, v45, 0
	v_max_i16 v46, v46, 0
	;; [unrolled: 1-line block ×3, first 2 shown]
	v_and_b32_e32 v44, 0xffff, v44
	s_and_b32 s1, s1, vcc_lo
	v_and_b32_e32 v45, 0xffff, v45
	v_and_b32_e32 v46, 0xffff, v46
	;; [unrolled: 1-line block ×3, first 2 shown]
	scratch_store_b128 off, v[44:47], off offset:192
	buffer_load_b32 v44, v56, s[40:43], 0 offen
	s_waitcnt vmcnt(2)
	v_lshlrev_b32_e32 v41, 8, v41
	v_lshlrev_b32_e32 v42, 16, v42
	s_waitcnt vmcnt(0)
	v_cndmask_b32_e64 v57, 0, v44, s2
	scratch_load_b128 v[44:47], off, off offset:192
	v_lshrrev_b32_e32 v58, 8, v57
	v_lshrrev_b32_e32 v59, 16, v57
	;; [unrolled: 1-line block ×3, first 2 shown]
	v_add_nc_u16 v48, v57, v48
	s_delay_alu instid0(VALU_DEP_4) | instskip(NEXT) | instid1(VALU_DEP_4)
	v_add_nc_u16 v49, v58, v49
	v_add_nc_u16 v50, v59, v50
	s_delay_alu instid0(VALU_DEP_4) | instskip(NEXT) | instid1(VALU_DEP_4)
	v_add_nc_u16 v51, v60, v51
	v_bfe_i32 v48, v48, 0, 8
	v_add_nc_u32_e32 v60, s3, v56
	v_bfe_i32 v49, v49, 0, 8
	v_bfe_i32 v50, v50, 0, 8
	;; [unrolled: 1-line block ×3, first 2 shown]
	v_max_i16 v48, v48, 0
	scratch_load_b128 v[56:59], off, off offset:224
	v_max_i16 v49, v49, 0
	v_max_i16 v50, v50, 0
	;; [unrolled: 1-line block ×3, first 2 shown]
	v_and_b32_e32 v48, 0xffff, v48
	s_delay_alu instid0(VALU_DEP_4) | instskip(NEXT) | instid1(VALU_DEP_4)
	v_and_b32_e32 v49, 0xffff, v49
	v_and_b32_e32 v50, 0xffff, v50
	s_delay_alu instid0(VALU_DEP_4)
	v_and_b32_e32 v51, 0xffff, v51
	scratch_store_b128 off, v[48:51], off offset:208
	buffer_load_b32 v48, v60, s[40:43], 0 offen
	s_waitcnt vmcnt(0)
	v_cndmask_b32_e64 v61, 0, v48, s1
	scratch_load_b128 v[48:51], off, off offset:208
	v_cmp_gt_i32_e64 s1, s27, v69
	v_lshrrev_b32_e32 v62, 8, v61
	v_lshrrev_b32_e32 v63, 16, v61
	v_lshrrev_b32_e32 v64, 24, v61
	v_add_nc_u16 v56, v61, v56
	s_and_b32 s2, s1, s0
	v_add_nc_u16 v57, v62, v57
	v_add_nc_u16 v58, v63, v58
	;; [unrolled: 1-line block ×3, first 2 shown]
	v_bfe_i32 v56, v56, 0, 8
	v_add_nc_u32_e32 v64, s4, v60
	v_bfe_i32 v57, v57, 0, 8
	v_bfe_i32 v58, v58, 0, 8
	;; [unrolled: 1-line block ×3, first 2 shown]
	v_max_i16 v56, v56, 0
	s_and_b32 s1, s1, vcc_lo
	v_max_i16 v57, v57, 0
	v_max_i16 v58, v58, 0
	;; [unrolled: 1-line block ×3, first 2 shown]
	v_and_b32_e32 v56, 0xffff, v56
	s_delay_alu instid0(VALU_DEP_4) | instskip(NEXT) | instid1(VALU_DEP_4)
	v_and_b32_e32 v57, 0xffff, v57
	v_and_b32_e32 v58, 0xffff, v58
	s_delay_alu instid0(VALU_DEP_4)
	v_and_b32_e32 v59, 0xffff, v59
	scratch_store_b128 off, v[56:59], off offset:224
	buffer_load_b32 v60, v64, s[40:43], 0 offen
	scratch_load_b128 v[56:59], off, off offset:240
	s_waitcnt vmcnt(1)
	v_cndmask_b32_e64 v65, 0, v60, s2
	scratch_load_b128 v[60:63], off, off offset:224
	v_lshrrev_b32_e32 v66, 8, v65
	v_lshrrev_b32_e32 v67, 16, v65
	;; [unrolled: 1-line block ×3, first 2 shown]
	s_waitcnt vmcnt(1)
	v_add_nc_u16 v56, v65, v56
	v_add_nc_u16 v57, v66, v57
	;; [unrolled: 1-line block ×4, first 2 shown]
	s_delay_alu instid0(VALU_DEP_4)
	v_bfe_i32 v56, v56, 0, 8
	v_add_nc_u32_e32 v70, s3, v64
	v_bfe_i32 v57, v57, 0, 8
	v_bfe_i32 v58, v58, 0, 8
	;; [unrolled: 1-line block ×3, first 2 shown]
	v_max_i16 v56, v56, 0
	s_delay_alu instid0(VALU_DEP_4) | instskip(NEXT) | instid1(VALU_DEP_4)
	v_max_i16 v57, v57, 0
	v_max_i16 v58, v58, 0
	s_delay_alu instid0(VALU_DEP_4) | instskip(NEXT) | instid1(VALU_DEP_4)
	v_max_i16 v59, v59, 0
	v_and_b32_e32 v56, 0xffff, v56
	s_delay_alu instid0(VALU_DEP_4) | instskip(NEXT) | instid1(VALU_DEP_4)
	v_and_b32_e32 v57, 0xffff, v57
	v_and_b32_e32 v58, 0xffff, v58
	s_delay_alu instid0(VALU_DEP_4)
	v_and_b32_e32 v59, 0xffff, v59
	scratch_store_b128 off, v[56:59], off offset:240
	buffer_load_b32 v64, v70, s[40:43], 0 offen
	scratch_load_b128 v[56:59], off, off offset:256
	s_waitcnt vmcnt(1)
	v_cndmask_b32_e64 v71, 0, v64, s1
	scratch_load_b128 v[64:67], off, off offset:240
	s_mul_i32 s1, s34, 60
	s_delay_alu instid0(SALU_CYCLE_1)
	v_add3_u32 v70, s4, s1, v70
	v_lshrrev_b32_e32 v72, 8, v71
	v_lshrrev_b32_e32 v73, 16, v71
	v_lshrrev_b32_e32 v74, 24, v71
	s_waitcnt vmcnt(1)
	v_add_nc_u16 v56, v71, v56
	v_add_nc_u32_e32 v71, 64, v53
	v_add_nc_u16 v57, v72, v57
	v_add_nc_u16 v58, v73, v58
	;; [unrolled: 1-line block ×3, first 2 shown]
	v_bfe_i32 v56, v56, 0, 8
	v_cmp_gt_i32_e64 s1, s27, v71
	v_bfe_i32 v57, v57, 0, 8
	v_bfe_i32 v58, v58, 0, 8
	;; [unrolled: 1-line block ×3, first 2 shown]
	v_max_i16 v56, v56, 0
	s_and_b32 s2, s1, s0
	v_max_i16 v57, v57, 0
	v_max_i16 v58, v58, 0
	;; [unrolled: 1-line block ×3, first 2 shown]
	v_and_b32_e32 v56, 0xffff, v56
	s_and_b32 s1, s1, vcc_lo
	v_and_b32_e32 v57, 0xffff, v57
	v_and_b32_e32 v58, 0xffff, v58
	;; [unrolled: 1-line block ×3, first 2 shown]
	v_add_nc_u32_e32 v72, 0x42, v53
	v_add_nc_u32_e32 v73, 0x43, v53
	v_cmp_gt_i32_e64 s11, s16, v71
	scratch_store_b128 off, v[56:59], off offset:256
	buffer_load_b32 v56, v70, s[40:43], 0 offen
	v_cmp_gt_i32_e64 s7, s16, v72
	v_cmp_ge_i32_e64 s8, s16, v72
	v_cmp_gt_i32_e64 s5, s16, v73
	v_cmp_ge_i32_e64 s6, s16, v73
	s_waitcnt vmcnt(0)
	v_cndmask_b32_e64 v56, 0, v56, s2
	s_delay_alu instid0(VALU_DEP_1)
	v_lshrrev_b32_e32 v57, 8, v56
	v_lshrrev_b32_e32 v58, 16, v56
	;; [unrolled: 1-line block ×3, first 2 shown]
	v_add_nc_u16 v32, v56, v32
	v_add_nc_u32_e32 v56, s3, v70
	v_add_nc_u16 v33, v57, v33
	v_add_nc_u16 v34, v58, v34
	;; [unrolled: 1-line block ×3, first 2 shown]
	v_bfe_i32 v32, v32, 0, 8
	v_add_nc_u32_e32 v70, 0x41, v53
	v_bfe_i32 v33, v33, 0, 8
	v_bfe_i32 v34, v34, 0, 8
	;; [unrolled: 1-line block ×3, first 2 shown]
	v_max_i16 v32, v32, 0
	v_cmp_gt_i32_e64 s9, s16, v70
	v_max_i16 v33, v33, 0
	v_max_i16 v34, v34, 0
	;; [unrolled: 1-line block ×3, first 2 shown]
	v_and_b32_e32 v32, 0xffff, v32
	v_cmp_ge_i32_e64 s10, s16, v70
	v_and_b32_e32 v33, 0xffff, v33
	v_and_b32_e32 v34, 0xffff, v34
	;; [unrolled: 1-line block ×3, first 2 shown]
	scratch_store_b128 off, v[32:35], off offset:272
	buffer_load_b32 v32, v56, s[40:43], 0 offen
	s_waitcnt vmcnt(0)
	v_cndmask_b32_e64 v32, 0, v32, s1
	v_cmp_gt_i32_e64 s1, s27, v70
	s_delay_alu instid0(VALU_DEP_2)
	v_lshrrev_b32_e32 v33, 8, v32
	v_lshrrev_b32_e32 v34, 16, v32
	;; [unrolled: 1-line block ×3, first 2 shown]
	v_add_nc_u16 v28, v32, v28
	v_add_nc_u32_e32 v32, s4, v56
	v_add_nc_u16 v29, v33, v29
	v_add_nc_u16 v30, v34, v30
	;; [unrolled: 1-line block ×3, first 2 shown]
	v_bfe_i32 v28, v28, 0, 8
	s_and_b32 s2, s1, s0
	v_bfe_i32 v29, v29, 0, 8
	v_bfe_i32 v30, v30, 0, 8
	;; [unrolled: 1-line block ×3, first 2 shown]
	v_max_i16 v28, v28, 0
	s_and_b32 s1, s1, vcc_lo
	v_max_i16 v29, v29, 0
	v_max_i16 v30, v30, 0
	;; [unrolled: 1-line block ×3, first 2 shown]
	v_and_b32_e32 v28, 0xffff, v28
	s_delay_alu instid0(VALU_DEP_4) | instskip(NEXT) | instid1(VALU_DEP_4)
	v_and_b32_e32 v29, 0xffff, v29
	v_and_b32_e32 v30, 0xffff, v30
	s_delay_alu instid0(VALU_DEP_4) | instskip(SKIP_4) | instid1(VALU_DEP_1)
	v_and_b32_e32 v31, 0xffff, v31
	scratch_store_b128 off, v[28:31], off offset:288
	buffer_load_b32 v28, v32, s[40:43], 0 offen
	s_waitcnt vmcnt(0)
	v_cndmask_b32_e64 v28, 0, v28, s2
	v_lshrrev_b32_e32 v29, 8, v28
	v_lshrrev_b32_e32 v30, 16, v28
	;; [unrolled: 1-line block ×3, first 2 shown]
	v_add_nc_u16 v24, v28, v24
	v_add_nc_u32_e32 v28, s3, v32
	v_add_nc_u16 v25, v29, v25
	v_add_nc_u16 v26, v30, v26
	;; [unrolled: 1-line block ×3, first 2 shown]
	v_bfe_i32 v24, v24, 0, 8
	s_delay_alu instid0(VALU_DEP_4) | instskip(NEXT) | instid1(VALU_DEP_4)
	v_bfe_i32 v25, v25, 0, 8
	v_bfe_i32 v26, v26, 0, 8
	s_delay_alu instid0(VALU_DEP_4) | instskip(NEXT) | instid1(VALU_DEP_4)
	v_bfe_i32 v27, v27, 0, 8
	v_max_i16 v24, v24, 0
	s_delay_alu instid0(VALU_DEP_4) | instskip(NEXT) | instid1(VALU_DEP_4)
	v_max_i16 v25, v25, 0
	v_max_i16 v26, v26, 0
	s_delay_alu instid0(VALU_DEP_4) | instskip(NEXT) | instid1(VALU_DEP_4)
	v_max_i16 v27, v27, 0
	v_and_b32_e32 v24, 0xffff, v24
	s_delay_alu instid0(VALU_DEP_4) | instskip(NEXT) | instid1(VALU_DEP_4)
	v_and_b32_e32 v25, 0xffff, v25
	v_and_b32_e32 v26, 0xffff, v26
	s_delay_alu instid0(VALU_DEP_4)
	v_and_b32_e32 v27, 0xffff, v27
	scratch_store_b128 off, v[24:27], off offset:304
	buffer_load_b32 v24, v28, s[40:43], 0 offen
	s_waitcnt vmcnt(0)
	v_cndmask_b32_e64 v24, 0, v24, s1
	v_cmp_gt_i32_e64 s1, s27, v72
	s_delay_alu instid0(VALU_DEP_2)
	v_lshrrev_b32_e32 v25, 8, v24
	v_lshrrev_b32_e32 v26, 16, v24
	;; [unrolled: 1-line block ×3, first 2 shown]
	v_add_nc_u16 v20, v24, v20
	v_add_nc_u32_e32 v24, s4, v28
	v_add_nc_u16 v21, v25, v21
	v_add_nc_u16 v22, v26, v22
	;; [unrolled: 1-line block ×3, first 2 shown]
	v_bfe_i32 v20, v20, 0, 8
	s_and_b32 s2, s1, s0
	v_bfe_i32 v21, v21, 0, 8
	v_bfe_i32 v22, v22, 0, 8
	;; [unrolled: 1-line block ×3, first 2 shown]
	v_max_i16 v20, v20, 0
	s_and_b32 s1, s1, vcc_lo
	v_max_i16 v21, v21, 0
	v_max_i16 v22, v22, 0
	;; [unrolled: 1-line block ×3, first 2 shown]
	v_and_b32_e32 v20, 0xffff, v20
	s_delay_alu instid0(VALU_DEP_4) | instskip(NEXT) | instid1(VALU_DEP_4)
	v_and_b32_e32 v21, 0xffff, v21
	v_and_b32_e32 v22, 0xffff, v22
	s_delay_alu instid0(VALU_DEP_4)
	v_and_b32_e32 v23, 0xffff, v23
	scratch_store_b128 off, v[20:23], off offset:320
	buffer_load_b32 v20, v24, s[40:43], 0 offen
	s_waitcnt vmcnt(0)
	v_cndmask_b32_e64 v20, 0, v20, s2
	v_cmp_gt_i32_e64 s2, s16, v55
	s_delay_alu instid0(VALU_DEP_2)
	v_lshrrev_b32_e32 v21, 8, v20
	v_lshrrev_b32_e32 v22, 16, v20
	;; [unrolled: 1-line block ×3, first 2 shown]
	v_add_nc_u16 v16, v20, v16
	v_add_nc_u32_e32 v20, s3, v24
	v_add_nc_u16 v17, v21, v17
	v_add_nc_u16 v18, v22, v18
	;; [unrolled: 1-line block ×3, first 2 shown]
	v_bfe_i32 v16, v16, 0, 8
	s_delay_alu instid0(VALU_DEP_4) | instskip(NEXT) | instid1(VALU_DEP_4)
	v_bfe_i32 v17, v17, 0, 8
	v_bfe_i32 v18, v18, 0, 8
	s_delay_alu instid0(VALU_DEP_4) | instskip(NEXT) | instid1(VALU_DEP_4)
	v_bfe_i32 v19, v19, 0, 8
	v_max_i16 v16, v16, 0
	s_delay_alu instid0(VALU_DEP_4) | instskip(NEXT) | instid1(VALU_DEP_4)
	v_max_i16 v17, v17, 0
	v_max_i16 v18, v18, 0
	s_delay_alu instid0(VALU_DEP_4) | instskip(NEXT) | instid1(VALU_DEP_4)
	v_max_i16 v19, v19, 0
	v_and_b32_e32 v16, 0xffff, v16
	s_delay_alu instid0(VALU_DEP_4) | instskip(NEXT) | instid1(VALU_DEP_4)
	v_and_b32_e32 v17, 0xffff, v17
	v_and_b32_e32 v18, 0xffff, v18
	s_delay_alu instid0(VALU_DEP_4)
	v_and_b32_e32 v19, 0xffff, v19
	scratch_store_b128 off, v[16:19], off offset:336
	buffer_load_b32 v16, v20, s[40:43], 0 offen
	s_waitcnt vmcnt(0)
	v_cndmask_b32_e64 v16, 0, v16, s1
	v_cmp_gt_i32_e64 s1, s27, v73
	s_delay_alu instid0(VALU_DEP_2)
	v_lshrrev_b32_e32 v17, 8, v16
	v_lshrrev_b32_e32 v18, 16, v16
	;; [unrolled: 1-line block ×3, first 2 shown]
	v_add_nc_u16 v12, v16, v12
	v_add_nc_u32_e32 v16, s4, v20
	v_add_nc_u16 v13, v17, v13
	v_add_nc_u16 v14, v18, v14
	;; [unrolled: 1-line block ×3, first 2 shown]
	v_bfe_i32 v12, v12, 0, 8
	s_and_b32 s0, s1, s0
	v_bfe_i32 v13, v13, 0, 8
	v_bfe_i32 v14, v14, 0, 8
	;; [unrolled: 1-line block ×3, first 2 shown]
	v_max_i16 v12, v12, 0
	s_and_b32 vcc_lo, s1, vcc_lo
	v_max_i16 v13, v13, 0
	v_max_i16 v14, v14, 0
	;; [unrolled: 1-line block ×3, first 2 shown]
	v_and_b32_e32 v12, 0xffff, v12
	v_cmp_gt_i32_e64 s4, s16, v69
	v_and_b32_e32 v13, 0xffff, v13
	v_and_b32_e32 v14, 0xffff, v14
	v_and_b32_e32 v15, 0xffff, v15
	scratch_store_b128 off, v[12:15], off offset:352
	buffer_load_b32 v12, v16, s[40:43], 0 offen
	s_waitcnt vmcnt(0)
	v_cndmask_b32_e64 v12, 0, v12, s0
	v_cmp_gt_i32_e64 s0, s16, v53
	v_mul_lo_u32 v53, v53, s18
	s_delay_alu instid0(VALU_DEP_3)
	v_lshrrev_b32_e32 v13, 8, v12
	v_lshrrev_b32_e32 v14, 16, v12
	;; [unrolled: 1-line block ×3, first 2 shown]
	v_add_nc_u16 v8, v12, v8
	v_add_nc_u32_e32 v12, s3, v16
	v_add_nc_u16 v9, v13, v9
	v_add_nc_u16 v10, v14, v10
	;; [unrolled: 1-line block ×3, first 2 shown]
	v_bfe_i32 v8, v8, 0, 8
	v_cmp_gt_i32_e64 s3, s16, v68
	v_bfe_i32 v9, v9, 0, 8
	v_bfe_i32 v10, v10, 0, 8
	;; [unrolled: 1-line block ×3, first 2 shown]
	v_max_i16 v8, v8, 0
	v_mad_u64_u32 v[68:69], null, v52, s19, v[53:54]
	v_max_i16 v9, v9, 0
	v_max_i16 v10, v10, 0
	;; [unrolled: 1-line block ×3, first 2 shown]
	v_and_b32_e32 v8, 0xffff, v8
	v_lshlrev_b32_e32 v54, 16, v54
	v_and_b32_e32 v9, 0xffff, v9
	v_and_b32_e32 v10, 0xffff, v10
	;; [unrolled: 1-line block ×3, first 2 shown]
	v_add_nc_u32_e32 v88, s18, v68
	scratch_store_b128 off, v[8:11], off offset:368
	buffer_load_b32 v20, v12, s[40:43], 0 offen
	s_clause 0x2
	scratch_load_b128 v[8:11], off, off offset:256
	scratch_load_b128 v[12:15], off, off offset:272
	scratch_load_b128 v[16:19], off, off offset:304
	s_waitcnt vmcnt(2)
	v_dual_cndmask_b32 v24, 0, v20 :: v_dual_lshlrev_b32 v9, 8, v9
	scratch_load_b128 v[20:23], off, off offset:288
	v_cmp_gt_i32_e32 vcc_lo, s21, v52
	v_add_nc_u32_e32 v52, s17, v68
	v_lshlrev_b32_e32 v10, 16, v10
	v_lshrrev_b32_e32 v25, 8, v24
	v_lshrrev_b32_e32 v28, 16, v24
	;; [unrolled: 1-line block ×3, first 2 shown]
	v_add_nc_u16 v4, v24, v4
	v_add_nc_u32_e32 v69, s18, v52
	v_add_nc_u16 v5, v25, v5
	v_add_nc_u16 v6, v28, v6
	scratch_load_b128 v[28:31], off, off offset:320
	v_add_nc_u16 v7, v32, v7
	v_bfe_i32 v4, v4, 0, 8
	v_bfe_i32 v5, v5, 0, 8
	;; [unrolled: 1-line block ×3, first 2 shown]
	scratch_load_b128 v[24:27], off, off offset:336
	v_bfe_i32 v32, v7, 0, 8
	v_max_i16 v56, v4, 0
	v_max_i16 v57, v5, 0
	;; [unrolled: 1-line block ×3, first 2 shown]
	scratch_load_b128 v[4:7], off, off offset:368
	v_max_i16 v59, v32, 0
	v_and_b32_e32 v56, 0xffff, v56
	v_and_b32_e32 v57, 0xffff, v57
	v_and_b32_e32 v58, 0xffff, v58
	scratch_load_b128 v[32:35], off, off offset:352
	v_and_b32_e32 v59, 0xffff, v59
	s_and_b32 s1, s0, vcc_lo
	v_add_nc_u32_e32 v72, s18, v69
	v_cndmask_b32_e64 v74, 0x80000000, 0, s1
	v_cmp_gt_i32_e64 s1, s21, v2
	scratch_store_b128 off, v[56:59], off offset:384
	scratch_load_b128 v[56:59], off, off offset:384
	v_add_nc_u32_e32 v76, s18, v72
	v_lshlrev_b32_e32 v11, 24, v11
	s_and_b32 s0, s0, s1
	v_perm_b32 v8, v9, v8, 0xc0c0500
	v_cndmask_b32_e64 v2, 0x80000000, 0, s0
	s_and_b32 s0, s2, s1
	v_subrev_nc_u32_e32 v79, s17, v76
	v_and_b32_e32 v9, 0xff0000, v10
	s_waitcnt vmcnt(7)
	v_lshlrev_b32_e32 v13, 8, v13
	v_lshlrev_b32_e32 v14, 16, v14
	v_cndmask_b32_e64 v53, 0x80000000, 0, s0
	s_and_b32 s0, s2, vcc_lo
	v_lshl_add_u32 v82, s22, 6, v79
	v_cndmask_b32_e64 v55, 0x80000000, 0, s0
	s_and_b32 s0, s3, vcc_lo
	v_or3_b32 v8, v8, v9, v11
	v_cndmask_b32_e64 v70, 0x80000000, 0, s0
	s_and_b32 s0, s3, s1
	v_perm_b32 v11, v13, v12, 0xc0c0500
	v_and_b32_e32 v12, 0xff0000, v14
	s_waitcnt vmcnt(6)
	v_lshlrev_b32_e32 v13, 8, v17
	v_lshlrev_b32_e32 v14, 16, v18
	v_cndmask_b32_e64 v71, 0x80000000, 0, s0
	s_and_b32 s0, s4, s1
	v_lshl_or_b32 v1, v1, 8, v54
	v_cndmask_b32_e64 v73, 0x80000000, 0, s0
	s_and_b32 s0, s4, vcc_lo
	v_subrev_nc_u32_e32 v85, s18, v82
	v_lshlrev_b32_e32 v9, 24, v15
	v_lshlrev_b32_e32 v15, 24, v19
	v_perm_b32 v13, v13, v16, 0xc0c0500
	v_and_b32_e32 v14, 0xff0000, v14
	v_cndmask_b32_e64 v75, 0x80000000, 0, s0
	s_and_b32 s0, s5, vcc_lo
	v_or3_b32 v0, v3, v1, v0
	v_or3_b32 v1, v36, v37, v39
	v_lshlrev_b32_e32 v3, 24, v43
	v_perm_b32 v36, v41, v40, 0xc0c0500
	v_and_b32_e32 v37, 0xff0000, v42
	v_lshlrev_b32_e32 v39, 8, v45
	v_lshlrev_b32_e32 v40, 16, v46
	v_lshlrev_b32_e32 v42, 8, v49
	v_lshlrev_b32_e32 v43, 16, v50
	v_cndmask_b32_e64 v77, 0x80000000, 0, s0
	s_and_b32 s0, s5, s1
	v_subrev_nc_u32_e32 v89, s17, v85
	v_cndmask_b32_e64 v78, 0x80000000, 0, s0
	s_and_b32 s0, s6, s1
	v_or3_b32 v13, v13, v14, v15
	v_cndmask_b32_e64 v80, 0x80000000, 0, s0
	s_and_b32 s0, s7, vcc_lo
	v_lshlrev_b32_e32 v41, 24, v47
	v_perm_b32 v39, v39, v44, 0xc0c0500
	v_and_b32_e32 v40, 0xff0000, v40
	v_lshlrev_b32_e32 v44, 24, v51
	v_perm_b32 v42, v42, v48, 0xc0c0500
	v_and_b32_e32 v43, 0xff0000, v43
	v_cndmask_b32_e64 v81, 0x80000000, 0, s0
	s_and_b32 s0, s8, vcc_lo
	v_add_nc_u32_e32 v2, v2, v52
	v_add_nc_u32_e32 v52, v88, v55
	v_subrev_nc_u32_e32 v55, s18, v89
	v_or3_b32 v3, v36, v37, v3
	v_lshlrev_b32_e32 v36, 8, v61
	v_lshlrev_b32_e32 v37, 16, v62
	v_or3_b32 v9, v11, v12, v9
	v_cndmask_b32_e64 v83, 0x80000000, 0, s0
	s_and_b32 s0, s9, s1
	v_or3_b32 v39, v39, v40, v41
	v_or3_b32 v40, v42, v43, v44
	v_lshlrev_b32_e32 v42, 8, v65
	v_lshlrev_b32_e32 v43, 16, v66
	v_cndmask_b32_e64 v84, 0x80000000, 0, s0
	s_and_b32 s0, s11, vcc_lo
	v_add_nc_u32_e32 v68, v74, v68
	v_cndmask_b32_e64 v86, 0x80000000, 0, s0
	v_add_nc_u32_e32 v53, v53, v69
	v_add_nc_u32_e32 v69, v72, v71
	v_add_nc_u32_e32 v72, s17, v55
	v_lshlrev_b32_e32 v41, 24, v63
	v_perm_b32 v36, v36, v60, 0xc0c0500
	v_and_b32_e32 v37, 0xff0000, v37
	v_lshlrev_b32_e32 v44, 24, v67
	v_perm_b32 v42, v42, v64, 0xc0c0500
	v_and_b32_e32 v43, 0xff0000, v43
	s_and_b32 s0, s10, s1
	buffer_store_b32 v0, v68, s[12:15], 0 offen
	v_cndmask_b32_e64 v87, 0x80000000, 0, s0
	v_subrev_nc_u32_e32 v86, s17, v86
	v_add3_u32 v74, v77, s20, v79
	v_subrev_nc_u32_e32 v77, s18, v72
	v_or3_b32 v10, v36, v37, v41
	v_add_nc_u32_e32 v71, v76, v73
	v_add_nc_u32_e32 v73, v79, v75
	v_or3_b32 v36, v42, v43, v44
	v_add3_u32 v70, v70, s18, v88
	v_add_nc_u32_e32 v75, v82, v78
	v_add_nc_u32_e32 v76, v85, v80
	;; [unrolled: 1-line block ×7, first 2 shown]
	s_clause 0x3
	buffer_store_b32 v1, v2, s[12:15], 0 offen
	buffer_store_b32 v39, v53, s[12:15], 0 offen
	;; [unrolled: 1-line block ×4, first 2 shown]
	s_waitcnt vmcnt(5)
	v_lshlrev_b32_e32 v17, 8, v21
	v_lshlrev_b32_e32 v18, 16, v22
	;; [unrolled: 1-line block ×3, first 2 shown]
	s_delay_alu instid0(VALU_DEP_3) | instskip(NEXT) | instid1(VALU_DEP_3)
	v_perm_b32 v12, v17, v20, 0xc0c0500
	v_and_b32_e32 v16, 0xff0000, v18
	s_waitcnt vmcnt(4)
	v_lshlrev_b32_e32 v18, 8, v29
	v_lshlrev_b32_e32 v19, 16, v30
	s_delay_alu instid0(VALU_DEP_3)
	v_or3_b32 v11, v12, v16, v11
	v_lshlrev_b32_e32 v12, 24, v31
	s_waitcnt vmcnt(3)
	v_lshlrev_b32_e32 v14, 8, v25
	v_lshlrev_b32_e32 v15, 16, v26
	;; [unrolled: 1-line block ×3, first 2 shown]
	v_perm_b32 v16, v18, v28, 0xc0c0500
	v_and_b32_e32 v18, 0xff0000, v19
	s_waitcnt vmcnt(2)
	v_lshlrev_b32_e32 v5, 8, v5
	v_lshlrev_b32_e32 v6, 16, v6
	;; [unrolled: 1-line block ×3, first 2 shown]
	v_perm_b32 v14, v14, v24, 0xc0c0500
	v_and_b32_e32 v15, 0xff0000, v15
	v_perm_b32 v4, v5, v4, 0xc0c0500
	v_and_b32_e32 v5, 0xff0000, v6
	s_waitcnt vmcnt(1)
	v_lshlrev_b32_e32 v6, 24, v35
	v_or3_b32 v12, v16, v18, v12
	v_or3_b32 v14, v14, v15, v17
	v_lshlrev_b32_e32 v15, 8, v33
	v_or3_b32 v4, v4, v5, v7
	s_waitcnt vmcnt(0)
	v_lshlrev_b32_e32 v5, 8, v57
	v_lshlrev_b32_e32 v7, 16, v58
	v_lshlrev_b32_e32 v17, 16, v34
	v_lshlrev_b32_e32 v0, 24, v59
	v_perm_b32 v15, v15, v32, 0xc0c0500
	v_perm_b32 v5, v5, v56, 0xc0c0500
	v_and_b32_e32 v7, 0xff0000, v7
	v_and_b32_e32 v17, 0xff0000, v17
	s_delay_alu instid0(VALU_DEP_2) | instskip(NEXT) | instid1(VALU_DEP_2)
	v_or3_b32 v0, v5, v7, v0
	v_or3_b32 v6, v15, v17, v6
	s_clause 0xa
	buffer_store_b32 v10, v69, s[12:15], 0 offen
	buffer_store_b32 v8, v71, s[12:15], 0 offen
	;; [unrolled: 1-line block ×11, first 2 shown]
	s_endpgm
	.section	.rodata,"a",@progbits
	.p2align	6, 0x0
	.amdhsa_kernel _ZN2ck16tensor_operation6device12_GLOBAL__N_137kernel_grouped_conv_fwd_dl_multiple_dINS_32GridwiseGemmDlMultipleD_km_kn_mnILi256EaiNS_5TupleIJaEEEaNS0_12element_wise11PassThroughES8_NS7_7AddReluELNS_25InMemoryDataOperationEnumE0ENS_16TensorDescriptorINS5_IJNS_5EmbedINS5_IJiiiiiEEESD_Lb0EEENS_11PassThroughIiEENS_3PadIiiiLb0EEESI_SI_SG_SG_NSC_INS5_IJiiEEESJ_Lb0EEESK_SK_SG_NS_23Merge_v2_magic_divisionINS5_IJiiiiEEEEESN_NS_8RightPadIiiLb0EEESP_NS_7UnMergeISJ_Lb0EEESG_EEENS5_IJNS_8SequenceIJLi0EEEENST_IJLi1EEEENST_IJLi2EEEENST_IJLi3EEEENST_IJLi4EEEENST_IJLi5EEEENST_IJLi6EEEENST_IJLi7EEEENST_IJLi8EEEENST_IJLi9EEEENST_IJLi10EEEENST_IJLi11ELi13ELi15ELi17EEEENST_IJLi12ELi14ELi16ELi18EEEENST_IJLi19EEEENST_IJLi20EEEENST_IJLi22EEEENST_IJLi21EEEEEEENS5_IJNST_IJLi1ELi2ELi3ELi4ELi5EEEES10_S11_S12_S13_S14_NST_IJLi11EEEENST_IJLi12ELi13EEEENST_IJLi14ELi15EEEENST_IJLi16ELi17EEEENST_IJLi18EEEES17_S18_S1A_S19_NST_IJLi23ELi24EEEENST_IJLi25EEEEEEENST_IJLi23ELi25ELi24EEEElEENSB_INS5_IJSR_SP_SP_SR_SG_EEENS5_IJSU_SV_SW_SY_SX_EEENS5_IJNST_IJLi1ELi2EEEESX_SY_NST_IJLi5ELi6EEEES11_EEENST_IJLi5ELi7ELi6EEEElEENSB_INS5_IJSK_SP_SP_EEENS5_IJSU_SV_SW_EEENS5_IJS1P_SX_SY_EEENST_IJLi3ELi4EEEElEELi128ELi128ELi16ELi4ELi4ELi4ELi1ENST_IJLi8ELi2EEEES1Z_NST_IJLi8ELi1ELi1ELi4EEEENST_IJLi2ELi1ELi128ELi1EEEENST_IJLi1ELi2ELi0ELi3EEEES22_NST_IJLi4ELi1ELi1ELi4EEEES22_NST_IJLi1ELi1ELi1ELi4EEEES20_S21_S22_S22_S23_S22_S24_NST_IJLi0ELi1ELi2ELi3ELi4ELi5EEEELi5ELi4EEEaNS5_IJPKaEEEaS8_S8_S9_NSB_INS5_IJSE_SG_SI_SI_SI_SG_SG_SK_SK_SK_SG_SN_SN_SP_SP_SR_SG_SG_NSQ_INS5_IJiNS_17integral_constantIiLi128EEEEEELb0EEENSF_INS2A_IiLi4EEEEEEEENS5_IJSU_SV_SW_SX_SY_SZ_S10_S11_S12_S13_S14_S15_S16_S17_S18_S19_S1A_NST_IJLi23EEEES1J_NST_IJLi24EEEEEEENS5_IJS1C_S10_S11_S12_S13_S14_S1D_S1E_S1F_S1G_S1H_S17_S18_S1A_S19_S1I_S1J_NST_IJLi26EEEENST_IJLi27ELi28EEEENST_IJLi29EEEEEEENST_IJLi26ELi27ELi28ELi29EEEElEENSB_INS5_IJSR_SP_SP_SR_SG_SG_S2D_S2F_EEENS5_IJSU_SV_SW_SY_SX_SZ_S11_S10_EEENS5_IJS1P_SX_SY_S1Q_S11_S12_NST_IJLi9ELi10EEEES1D_EEENST_IJLi8ELi9ELi10ELi11EEEElEENS5_IJNSB_INS5_IJSK_SP_SP_NSQ_INS5_IJiNS2A_IiLi2EEENS2A_IiLi64EEEEEELb0EEES2Z_EEENS5_IJSU_SV_SW_SX_SY_EEENS5_IJS1P_SX_SY_NST_IJLi5ELi6ELi7EEEENST_IJLi8ELi9ELi10EEEEEEENST_IJLi5ELi6ELi7ELi8ELi9ELi10EEEElEEEEES36_NS_31BlockToCTileMap_M00_N00_M01_N01ILi128ELi128ES1Y_Lb0EEENS1_30ComputePtrOffsetOfStridedBatchILi1ELi1ELi1EvEELb0ELb1EEEvPKT0_S3E_T1_PT2_T3_T4_T5_iT6_T7_T8_T9_T10_T11_
		.amdhsa_group_segment_fixed_size 32768
		.amdhsa_private_segment_fixed_size 480
		.amdhsa_kernarg_size 1024
		.amdhsa_user_sgpr_count 15
		.amdhsa_user_sgpr_dispatch_ptr 0
		.amdhsa_user_sgpr_queue_ptr 0
		.amdhsa_user_sgpr_kernarg_segment_ptr 1
		.amdhsa_user_sgpr_dispatch_id 0
		.amdhsa_user_sgpr_private_segment_size 0
		.amdhsa_wavefront_size32 1
		.amdhsa_uses_dynamic_stack 0
		.amdhsa_enable_private_segment 1
		.amdhsa_system_sgpr_workgroup_id_x 1
		.amdhsa_system_sgpr_workgroup_id_y 0
		.amdhsa_system_sgpr_workgroup_id_z 0
		.amdhsa_system_sgpr_workgroup_info 0
		.amdhsa_system_vgpr_workitem_id 0
		.amdhsa_next_free_vgpr 90
		.amdhsa_next_free_sgpr 90
		.amdhsa_reserve_vcc 1
		.amdhsa_float_round_mode_32 0
		.amdhsa_float_round_mode_16_64 0
		.amdhsa_float_denorm_mode_32 3
		.amdhsa_float_denorm_mode_16_64 3
		.amdhsa_dx10_clamp 1
		.amdhsa_ieee_mode 1
		.amdhsa_fp16_overflow 0
		.amdhsa_workgroup_processor_mode 1
		.amdhsa_memory_ordered 1
		.amdhsa_forward_progress 0
		.amdhsa_shared_vgpr_count 0
		.amdhsa_exception_fp_ieee_invalid_op 0
		.amdhsa_exception_fp_denorm_src 0
		.amdhsa_exception_fp_ieee_div_zero 0
		.amdhsa_exception_fp_ieee_overflow 0
		.amdhsa_exception_fp_ieee_underflow 0
		.amdhsa_exception_fp_ieee_inexact 0
		.amdhsa_exception_int_div_zero 0
	.end_amdhsa_kernel
	.section	.text._ZN2ck16tensor_operation6device12_GLOBAL__N_137kernel_grouped_conv_fwd_dl_multiple_dINS_32GridwiseGemmDlMultipleD_km_kn_mnILi256EaiNS_5TupleIJaEEEaNS0_12element_wise11PassThroughES8_NS7_7AddReluELNS_25InMemoryDataOperationEnumE0ENS_16TensorDescriptorINS5_IJNS_5EmbedINS5_IJiiiiiEEESD_Lb0EEENS_11PassThroughIiEENS_3PadIiiiLb0EEESI_SI_SG_SG_NSC_INS5_IJiiEEESJ_Lb0EEESK_SK_SG_NS_23Merge_v2_magic_divisionINS5_IJiiiiEEEEESN_NS_8RightPadIiiLb0EEESP_NS_7UnMergeISJ_Lb0EEESG_EEENS5_IJNS_8SequenceIJLi0EEEENST_IJLi1EEEENST_IJLi2EEEENST_IJLi3EEEENST_IJLi4EEEENST_IJLi5EEEENST_IJLi6EEEENST_IJLi7EEEENST_IJLi8EEEENST_IJLi9EEEENST_IJLi10EEEENST_IJLi11ELi13ELi15ELi17EEEENST_IJLi12ELi14ELi16ELi18EEEENST_IJLi19EEEENST_IJLi20EEEENST_IJLi22EEEENST_IJLi21EEEEEEENS5_IJNST_IJLi1ELi2ELi3ELi4ELi5EEEES10_S11_S12_S13_S14_NST_IJLi11EEEENST_IJLi12ELi13EEEENST_IJLi14ELi15EEEENST_IJLi16ELi17EEEENST_IJLi18EEEES17_S18_S1A_S19_NST_IJLi23ELi24EEEENST_IJLi25EEEEEEENST_IJLi23ELi25ELi24EEEElEENSB_INS5_IJSR_SP_SP_SR_SG_EEENS5_IJSU_SV_SW_SY_SX_EEENS5_IJNST_IJLi1ELi2EEEESX_SY_NST_IJLi5ELi6EEEES11_EEENST_IJLi5ELi7ELi6EEEElEENSB_INS5_IJSK_SP_SP_EEENS5_IJSU_SV_SW_EEENS5_IJS1P_SX_SY_EEENST_IJLi3ELi4EEEElEELi128ELi128ELi16ELi4ELi4ELi4ELi1ENST_IJLi8ELi2EEEES1Z_NST_IJLi8ELi1ELi1ELi4EEEENST_IJLi2ELi1ELi128ELi1EEEENST_IJLi1ELi2ELi0ELi3EEEES22_NST_IJLi4ELi1ELi1ELi4EEEES22_NST_IJLi1ELi1ELi1ELi4EEEES20_S21_S22_S22_S23_S22_S24_NST_IJLi0ELi1ELi2ELi3ELi4ELi5EEEELi5ELi4EEEaNS5_IJPKaEEEaS8_S8_S9_NSB_INS5_IJSE_SG_SI_SI_SI_SG_SG_SK_SK_SK_SG_SN_SN_SP_SP_SR_SG_SG_NSQ_INS5_IJiNS_17integral_constantIiLi128EEEEEELb0EEENSF_INS2A_IiLi4EEEEEEEENS5_IJSU_SV_SW_SX_SY_SZ_S10_S11_S12_S13_S14_S15_S16_S17_S18_S19_S1A_NST_IJLi23EEEES1J_NST_IJLi24EEEEEEENS5_IJS1C_S10_S11_S12_S13_S14_S1D_S1E_S1F_S1G_S1H_S17_S18_S1A_S19_S1I_S1J_NST_IJLi26EEEENST_IJLi27ELi28EEEENST_IJLi29EEEEEEENST_IJLi26ELi27ELi28ELi29EEEElEENSB_INS5_IJSR_SP_SP_SR_SG_SG_S2D_S2F_EEENS5_IJSU_SV_SW_SY_SX_SZ_S11_S10_EEENS5_IJS1P_SX_SY_S1Q_S11_S12_NST_IJLi9ELi10EEEES1D_EEENST_IJLi8ELi9ELi10ELi11EEEElEENS5_IJNSB_INS5_IJSK_SP_SP_NSQ_INS5_IJiNS2A_IiLi2EEENS2A_IiLi64EEEEEELb0EEES2Z_EEENS5_IJSU_SV_SW_SX_SY_EEENS5_IJS1P_SX_SY_NST_IJLi5ELi6ELi7EEEENST_IJLi8ELi9ELi10EEEEEEENST_IJLi5ELi6ELi7ELi8ELi9ELi10EEEElEEEEES36_NS_31BlockToCTileMap_M00_N00_M01_N01ILi128ELi128ES1Y_Lb0EEENS1_30ComputePtrOffsetOfStridedBatchILi1ELi1ELi1EvEELb0ELb1EEEvPKT0_S3E_T1_PT2_T3_T4_T5_iT6_T7_T8_T9_T10_T11_,"axG",@progbits,_ZN2ck16tensor_operation6device12_GLOBAL__N_137kernel_grouped_conv_fwd_dl_multiple_dINS_32GridwiseGemmDlMultipleD_km_kn_mnILi256EaiNS_5TupleIJaEEEaNS0_12element_wise11PassThroughES8_NS7_7AddReluELNS_25InMemoryDataOperationEnumE0ENS_16TensorDescriptorINS5_IJNS_5EmbedINS5_IJiiiiiEEESD_Lb0EEENS_11PassThroughIiEENS_3PadIiiiLb0EEESI_SI_SG_SG_NSC_INS5_IJiiEEESJ_Lb0EEESK_SK_SG_NS_23Merge_v2_magic_divisionINS5_IJiiiiEEEEESN_NS_8RightPadIiiLb0EEESP_NS_7UnMergeISJ_Lb0EEESG_EEENS5_IJNS_8SequenceIJLi0EEEENST_IJLi1EEEENST_IJLi2EEEENST_IJLi3EEEENST_IJLi4EEEENST_IJLi5EEEENST_IJLi6EEEENST_IJLi7EEEENST_IJLi8EEEENST_IJLi9EEEENST_IJLi10EEEENST_IJLi11ELi13ELi15ELi17EEEENST_IJLi12ELi14ELi16ELi18EEEENST_IJLi19EEEENST_IJLi20EEEENST_IJLi22EEEENST_IJLi21EEEEEEENS5_IJNST_IJLi1ELi2ELi3ELi4ELi5EEEES10_S11_S12_S13_S14_NST_IJLi11EEEENST_IJLi12ELi13EEEENST_IJLi14ELi15EEEENST_IJLi16ELi17EEEENST_IJLi18EEEES17_S18_S1A_S19_NST_IJLi23ELi24EEEENST_IJLi25EEEEEEENST_IJLi23ELi25ELi24EEEElEENSB_INS5_IJSR_SP_SP_SR_SG_EEENS5_IJSU_SV_SW_SY_SX_EEENS5_IJNST_IJLi1ELi2EEEESX_SY_NST_IJLi5ELi6EEEES11_EEENST_IJLi5ELi7ELi6EEEElEENSB_INS5_IJSK_SP_SP_EEENS5_IJSU_SV_SW_EEENS5_IJS1P_SX_SY_EEENST_IJLi3ELi4EEEElEELi128ELi128ELi16ELi4ELi4ELi4ELi1ENST_IJLi8ELi2EEEES1Z_NST_IJLi8ELi1ELi1ELi4EEEENST_IJLi2ELi1ELi128ELi1EEEENST_IJLi1ELi2ELi0ELi3EEEES22_NST_IJLi4ELi1ELi1ELi4EEEES22_NST_IJLi1ELi1ELi1ELi4EEEES20_S21_S22_S22_S23_S22_S24_NST_IJLi0ELi1ELi2ELi3ELi4ELi5EEEELi5ELi4EEEaNS5_IJPKaEEEaS8_S8_S9_NSB_INS5_IJSE_SG_SI_SI_SI_SG_SG_SK_SK_SK_SG_SN_SN_SP_SP_SR_SG_SG_NSQ_INS5_IJiNS_17integral_constantIiLi128EEEEEELb0EEENSF_INS2A_IiLi4EEEEEEEENS5_IJSU_SV_SW_SX_SY_SZ_S10_S11_S12_S13_S14_S15_S16_S17_S18_S19_S1A_NST_IJLi23EEEES1J_NST_IJLi24EEEEEEENS5_IJS1C_S10_S11_S12_S13_S14_S1D_S1E_S1F_S1G_S1H_S17_S18_S1A_S19_S1I_S1J_NST_IJLi26EEEENST_IJLi27ELi28EEEENST_IJLi29EEEEEEENST_IJLi26ELi27ELi28ELi29EEEElEENSB_INS5_IJSR_SP_SP_SR_SG_SG_S2D_S2F_EEENS5_IJSU_SV_SW_SY_SX_SZ_S11_S10_EEENS5_IJS1P_SX_SY_S1Q_S11_S12_NST_IJLi9ELi10EEEES1D_EEENST_IJLi8ELi9ELi10ELi11EEEElEENS5_IJNSB_INS5_IJSK_SP_SP_NSQ_INS5_IJiNS2A_IiLi2EEENS2A_IiLi64EEEEEELb0EEES2Z_EEENS5_IJSU_SV_SW_SX_SY_EEENS5_IJS1P_SX_SY_NST_IJLi5ELi6ELi7EEEENST_IJLi8ELi9ELi10EEEEEEENST_IJLi5ELi6ELi7ELi8ELi9ELi10EEEElEEEEES36_NS_31BlockToCTileMap_M00_N00_M01_N01ILi128ELi128ES1Y_Lb0EEENS1_30ComputePtrOffsetOfStridedBatchILi1ELi1ELi1EvEELb0ELb1EEEvPKT0_S3E_T1_PT2_T3_T4_T5_iT6_T7_T8_T9_T10_T11_,comdat
.Lfunc_end12:
	.size	_ZN2ck16tensor_operation6device12_GLOBAL__N_137kernel_grouped_conv_fwd_dl_multiple_dINS_32GridwiseGemmDlMultipleD_km_kn_mnILi256EaiNS_5TupleIJaEEEaNS0_12element_wise11PassThroughES8_NS7_7AddReluELNS_25InMemoryDataOperationEnumE0ENS_16TensorDescriptorINS5_IJNS_5EmbedINS5_IJiiiiiEEESD_Lb0EEENS_11PassThroughIiEENS_3PadIiiiLb0EEESI_SI_SG_SG_NSC_INS5_IJiiEEESJ_Lb0EEESK_SK_SG_NS_23Merge_v2_magic_divisionINS5_IJiiiiEEEEESN_NS_8RightPadIiiLb0EEESP_NS_7UnMergeISJ_Lb0EEESG_EEENS5_IJNS_8SequenceIJLi0EEEENST_IJLi1EEEENST_IJLi2EEEENST_IJLi3EEEENST_IJLi4EEEENST_IJLi5EEEENST_IJLi6EEEENST_IJLi7EEEENST_IJLi8EEEENST_IJLi9EEEENST_IJLi10EEEENST_IJLi11ELi13ELi15ELi17EEEENST_IJLi12ELi14ELi16ELi18EEEENST_IJLi19EEEENST_IJLi20EEEENST_IJLi22EEEENST_IJLi21EEEEEEENS5_IJNST_IJLi1ELi2ELi3ELi4ELi5EEEES10_S11_S12_S13_S14_NST_IJLi11EEEENST_IJLi12ELi13EEEENST_IJLi14ELi15EEEENST_IJLi16ELi17EEEENST_IJLi18EEEES17_S18_S1A_S19_NST_IJLi23ELi24EEEENST_IJLi25EEEEEEENST_IJLi23ELi25ELi24EEEElEENSB_INS5_IJSR_SP_SP_SR_SG_EEENS5_IJSU_SV_SW_SY_SX_EEENS5_IJNST_IJLi1ELi2EEEESX_SY_NST_IJLi5ELi6EEEES11_EEENST_IJLi5ELi7ELi6EEEElEENSB_INS5_IJSK_SP_SP_EEENS5_IJSU_SV_SW_EEENS5_IJS1P_SX_SY_EEENST_IJLi3ELi4EEEElEELi128ELi128ELi16ELi4ELi4ELi4ELi1ENST_IJLi8ELi2EEEES1Z_NST_IJLi8ELi1ELi1ELi4EEEENST_IJLi2ELi1ELi128ELi1EEEENST_IJLi1ELi2ELi0ELi3EEEES22_NST_IJLi4ELi1ELi1ELi4EEEES22_NST_IJLi1ELi1ELi1ELi4EEEES20_S21_S22_S22_S23_S22_S24_NST_IJLi0ELi1ELi2ELi3ELi4ELi5EEEELi5ELi4EEEaNS5_IJPKaEEEaS8_S8_S9_NSB_INS5_IJSE_SG_SI_SI_SI_SG_SG_SK_SK_SK_SG_SN_SN_SP_SP_SR_SG_SG_NSQ_INS5_IJiNS_17integral_constantIiLi128EEEEEELb0EEENSF_INS2A_IiLi4EEEEEEEENS5_IJSU_SV_SW_SX_SY_SZ_S10_S11_S12_S13_S14_S15_S16_S17_S18_S19_S1A_NST_IJLi23EEEES1J_NST_IJLi24EEEEEEENS5_IJS1C_S10_S11_S12_S13_S14_S1D_S1E_S1F_S1G_S1H_S17_S18_S1A_S19_S1I_S1J_NST_IJLi26EEEENST_IJLi27ELi28EEEENST_IJLi29EEEEEEENST_IJLi26ELi27ELi28ELi29EEEElEENSB_INS5_IJSR_SP_SP_SR_SG_SG_S2D_S2F_EEENS5_IJSU_SV_SW_SY_SX_SZ_S11_S10_EEENS5_IJS1P_SX_SY_S1Q_S11_S12_NST_IJLi9ELi10EEEES1D_EEENST_IJLi8ELi9ELi10ELi11EEEElEENS5_IJNSB_INS5_IJSK_SP_SP_NSQ_INS5_IJiNS2A_IiLi2EEENS2A_IiLi64EEEEEELb0EEES2Z_EEENS5_IJSU_SV_SW_SX_SY_EEENS5_IJS1P_SX_SY_NST_IJLi5ELi6ELi7EEEENST_IJLi8ELi9ELi10EEEEEEENST_IJLi5ELi6ELi7ELi8ELi9ELi10EEEElEEEEES36_NS_31BlockToCTileMap_M00_N00_M01_N01ILi128ELi128ES1Y_Lb0EEENS1_30ComputePtrOffsetOfStridedBatchILi1ELi1ELi1EvEELb0ELb1EEEvPKT0_S3E_T1_PT2_T3_T4_T5_iT6_T7_T8_T9_T10_T11_, .Lfunc_end12-_ZN2ck16tensor_operation6device12_GLOBAL__N_137kernel_grouped_conv_fwd_dl_multiple_dINS_32GridwiseGemmDlMultipleD_km_kn_mnILi256EaiNS_5TupleIJaEEEaNS0_12element_wise11PassThroughES8_NS7_7AddReluELNS_25InMemoryDataOperationEnumE0ENS_16TensorDescriptorINS5_IJNS_5EmbedINS5_IJiiiiiEEESD_Lb0EEENS_11PassThroughIiEENS_3PadIiiiLb0EEESI_SI_SG_SG_NSC_INS5_IJiiEEESJ_Lb0EEESK_SK_SG_NS_23Merge_v2_magic_divisionINS5_IJiiiiEEEEESN_NS_8RightPadIiiLb0EEESP_NS_7UnMergeISJ_Lb0EEESG_EEENS5_IJNS_8SequenceIJLi0EEEENST_IJLi1EEEENST_IJLi2EEEENST_IJLi3EEEENST_IJLi4EEEENST_IJLi5EEEENST_IJLi6EEEENST_IJLi7EEEENST_IJLi8EEEENST_IJLi9EEEENST_IJLi10EEEENST_IJLi11ELi13ELi15ELi17EEEENST_IJLi12ELi14ELi16ELi18EEEENST_IJLi19EEEENST_IJLi20EEEENST_IJLi22EEEENST_IJLi21EEEEEEENS5_IJNST_IJLi1ELi2ELi3ELi4ELi5EEEES10_S11_S12_S13_S14_NST_IJLi11EEEENST_IJLi12ELi13EEEENST_IJLi14ELi15EEEENST_IJLi16ELi17EEEENST_IJLi18EEEES17_S18_S1A_S19_NST_IJLi23ELi24EEEENST_IJLi25EEEEEEENST_IJLi23ELi25ELi24EEEElEENSB_INS5_IJSR_SP_SP_SR_SG_EEENS5_IJSU_SV_SW_SY_SX_EEENS5_IJNST_IJLi1ELi2EEEESX_SY_NST_IJLi5ELi6EEEES11_EEENST_IJLi5ELi7ELi6EEEElEENSB_INS5_IJSK_SP_SP_EEENS5_IJSU_SV_SW_EEENS5_IJS1P_SX_SY_EEENST_IJLi3ELi4EEEElEELi128ELi128ELi16ELi4ELi4ELi4ELi1ENST_IJLi8ELi2EEEES1Z_NST_IJLi8ELi1ELi1ELi4EEEENST_IJLi2ELi1ELi128ELi1EEEENST_IJLi1ELi2ELi0ELi3EEEES22_NST_IJLi4ELi1ELi1ELi4EEEES22_NST_IJLi1ELi1ELi1ELi4EEEES20_S21_S22_S22_S23_S22_S24_NST_IJLi0ELi1ELi2ELi3ELi4ELi5EEEELi5ELi4EEEaNS5_IJPKaEEEaS8_S8_S9_NSB_INS5_IJSE_SG_SI_SI_SI_SG_SG_SK_SK_SK_SG_SN_SN_SP_SP_SR_SG_SG_NSQ_INS5_IJiNS_17integral_constantIiLi128EEEEEELb0EEENSF_INS2A_IiLi4EEEEEEEENS5_IJSU_SV_SW_SX_SY_SZ_S10_S11_S12_S13_S14_S15_S16_S17_S18_S19_S1A_NST_IJLi23EEEES1J_NST_IJLi24EEEEEEENS5_IJS1C_S10_S11_S12_S13_S14_S1D_S1E_S1F_S1G_S1H_S17_S18_S1A_S19_S1I_S1J_NST_IJLi26EEEENST_IJLi27ELi28EEEENST_IJLi29EEEEEEENST_IJLi26ELi27ELi28ELi29EEEElEENSB_INS5_IJSR_SP_SP_SR_SG_SG_S2D_S2F_EEENS5_IJSU_SV_SW_SY_SX_SZ_S11_S10_EEENS5_IJS1P_SX_SY_S1Q_S11_S12_NST_IJLi9ELi10EEEES1D_EEENST_IJLi8ELi9ELi10ELi11EEEElEENS5_IJNSB_INS5_IJSK_SP_SP_NSQ_INS5_IJiNS2A_IiLi2EEENS2A_IiLi64EEEEEELb0EEES2Z_EEENS5_IJSU_SV_SW_SX_SY_EEENS5_IJS1P_SX_SY_NST_IJLi5ELi6ELi7EEEENST_IJLi8ELi9ELi10EEEEEEENST_IJLi5ELi6ELi7ELi8ELi9ELi10EEEElEEEEES36_NS_31BlockToCTileMap_M00_N00_M01_N01ILi128ELi128ES1Y_Lb0EEENS1_30ComputePtrOffsetOfStridedBatchILi1ELi1ELi1EvEELb0ELb1EEEvPKT0_S3E_T1_PT2_T3_T4_T5_iT6_T7_T8_T9_T10_T11_
                                        ; -- End function
	.section	.AMDGPU.csdata,"",@progbits
; Kernel info:
; codeLenInByte = 10524
; NumSgprs: 92
; NumVgprs: 90
; ScratchSize: 480
; MemoryBound: 0
; FloatMode: 240
; IeeeMode: 1
; LDSByteSize: 32768 bytes/workgroup (compile time only)
; SGPRBlocks: 11
; VGPRBlocks: 11
; NumSGPRsForWavesPerEU: 92
; NumVGPRsForWavesPerEU: 90
; Occupancy: 8
; WaveLimiterHint : 1
; COMPUTE_PGM_RSRC2:SCRATCH_EN: 1
; COMPUTE_PGM_RSRC2:USER_SGPR: 15
; COMPUTE_PGM_RSRC2:TRAP_HANDLER: 0
; COMPUTE_PGM_RSRC2:TGID_X_EN: 1
; COMPUTE_PGM_RSRC2:TGID_Y_EN: 0
; COMPUTE_PGM_RSRC2:TGID_Z_EN: 0
; COMPUTE_PGM_RSRC2:TIDIG_COMP_CNT: 0
	.section	.text._ZN2ck16tensor_operation6device12_GLOBAL__N_137kernel_grouped_conv_fwd_dl_multiple_dINS_32GridwiseGemmDlMultipleD_km_kn_mnILi256EaiNS_5TupleIJaEEEaNS0_12element_wise11PassThroughES8_NS7_7AddReluELNS_25InMemoryDataOperationEnumE0ENS_16TensorDescriptorINS5_IJNS_5EmbedINS5_IJiiiiiEEESD_Lb0EEENS_11PassThroughIiEENS_3PadIiiiLb0EEESI_SI_SG_SG_NSC_INS5_IJiiEEESJ_Lb0EEESK_SK_SG_NS_23Merge_v2_magic_divisionINS5_IJiiiiEEEEESN_NS_8RightPadIiiLb0EEESP_NS_7UnMergeISJ_Lb0EEESG_EEENS5_IJNS_8SequenceIJLi0EEEENST_IJLi1EEEENST_IJLi2EEEENST_IJLi3EEEENST_IJLi4EEEENST_IJLi5EEEENST_IJLi6EEEENST_IJLi7EEEENST_IJLi8EEEENST_IJLi9EEEENST_IJLi10EEEENST_IJLi11ELi13ELi15ELi17EEEENST_IJLi12ELi14ELi16ELi18EEEENST_IJLi19EEEENST_IJLi20EEEENST_IJLi22EEEENST_IJLi21EEEEEEENS5_IJNST_IJLi1ELi2ELi3ELi4ELi5EEEES10_S11_S12_S13_S14_NST_IJLi11EEEENST_IJLi12ELi13EEEENST_IJLi14ELi15EEEENST_IJLi16ELi17EEEENST_IJLi18EEEES17_S18_S1A_S19_NST_IJLi23ELi24EEEENST_IJLi25EEEEEEENST_IJLi23ELi25ELi24EEEElEENSB_INS5_IJSR_SP_SP_SR_SG_EEENS5_IJSU_SV_SW_SY_SX_EEENS5_IJNST_IJLi1ELi2EEEESX_SY_NST_IJLi5ELi6EEEES11_EEENST_IJLi5ELi7ELi6EEEElEENSB_INS5_IJSK_SP_SP_EEENS5_IJSU_SV_SW_EEENS5_IJS1P_SX_SY_EEENST_IJLi3ELi4EEEElEELi128ELi128ELi16ELi4ELi4ELi4ELi1ENST_IJLi8ELi2EEEES1Z_NST_IJLi8ELi1ELi1ELi4EEEENST_IJLi2ELi1ELi128ELi1EEEENST_IJLi1ELi2ELi0ELi3EEEES22_NST_IJLi4ELi1ELi1ELi4EEEES22_NST_IJLi1ELi1ELi1ELi4EEEES20_S21_S22_S22_S23_S22_S24_NST_IJLi0ELi1ELi2ELi3ELi4ELi5EEEELi5ELi4EEEaNS5_IJPKaEEEaS8_S8_S9_NSB_INS5_IJSE_SG_SI_SI_SI_SG_SG_SK_SK_SK_SG_SN_SN_SP_SP_SR_SG_SG_NSQ_INS5_IJiNS_17integral_constantIiLi128EEEEEELb0EEENSF_INS2A_IiLi4EEEEEEEENS5_IJSU_SV_SW_SX_SY_SZ_S10_S11_S12_S13_S14_S15_S16_S17_S18_S19_S1A_NST_IJLi23EEEES1J_NST_IJLi24EEEEEEENS5_IJS1C_S10_S11_S12_S13_S14_S1D_S1E_S1F_S1G_S1H_S17_S18_S1A_S19_S1I_S1J_NST_IJLi26EEEENST_IJLi27ELi28EEEENST_IJLi29EEEEEEENST_IJLi26ELi27ELi28ELi29EEEElEENSB_INS5_IJSR_SP_SP_SR_SG_SG_S2D_S2F_EEENS5_IJSU_SV_SW_SY_SX_SZ_S11_S10_EEENS5_IJS1P_SX_SY_S1Q_S11_S12_NST_IJLi9ELi10EEEES1D_EEENST_IJLi8ELi9ELi10ELi11EEEElEENS5_IJNSB_INS5_IJSK_SP_SP_NSQ_INS5_IJiNS2A_IiLi2EEENS2A_IiLi64EEEEEELb0EEES2Z_EEENS5_IJSU_SV_SW_SX_SY_EEENS5_IJS1P_SX_SY_NST_IJLi5ELi6ELi7EEEENST_IJLi8ELi9ELi10EEEEEEENST_IJLi5ELi6ELi7ELi8ELi9ELi10EEEElEEEEES36_NS_31BlockToCTileMap_M00_N00_M01_N01ILi128ELi128ES1Y_Lb0EEENS1_30ComputePtrOffsetOfStridedBatchILi1ELi1ELi1EvEELb0ELb0EEEvPKT0_S3E_T1_PT2_T3_T4_T5_iT6_T7_T8_T9_T10_T11_,"axG",@progbits,_ZN2ck16tensor_operation6device12_GLOBAL__N_137kernel_grouped_conv_fwd_dl_multiple_dINS_32GridwiseGemmDlMultipleD_km_kn_mnILi256EaiNS_5TupleIJaEEEaNS0_12element_wise11PassThroughES8_NS7_7AddReluELNS_25InMemoryDataOperationEnumE0ENS_16TensorDescriptorINS5_IJNS_5EmbedINS5_IJiiiiiEEESD_Lb0EEENS_11PassThroughIiEENS_3PadIiiiLb0EEESI_SI_SG_SG_NSC_INS5_IJiiEEESJ_Lb0EEESK_SK_SG_NS_23Merge_v2_magic_divisionINS5_IJiiiiEEEEESN_NS_8RightPadIiiLb0EEESP_NS_7UnMergeISJ_Lb0EEESG_EEENS5_IJNS_8SequenceIJLi0EEEENST_IJLi1EEEENST_IJLi2EEEENST_IJLi3EEEENST_IJLi4EEEENST_IJLi5EEEENST_IJLi6EEEENST_IJLi7EEEENST_IJLi8EEEENST_IJLi9EEEENST_IJLi10EEEENST_IJLi11ELi13ELi15ELi17EEEENST_IJLi12ELi14ELi16ELi18EEEENST_IJLi19EEEENST_IJLi20EEEENST_IJLi22EEEENST_IJLi21EEEEEEENS5_IJNST_IJLi1ELi2ELi3ELi4ELi5EEEES10_S11_S12_S13_S14_NST_IJLi11EEEENST_IJLi12ELi13EEEENST_IJLi14ELi15EEEENST_IJLi16ELi17EEEENST_IJLi18EEEES17_S18_S1A_S19_NST_IJLi23ELi24EEEENST_IJLi25EEEEEEENST_IJLi23ELi25ELi24EEEElEENSB_INS5_IJSR_SP_SP_SR_SG_EEENS5_IJSU_SV_SW_SY_SX_EEENS5_IJNST_IJLi1ELi2EEEESX_SY_NST_IJLi5ELi6EEEES11_EEENST_IJLi5ELi7ELi6EEEElEENSB_INS5_IJSK_SP_SP_EEENS5_IJSU_SV_SW_EEENS5_IJS1P_SX_SY_EEENST_IJLi3ELi4EEEElEELi128ELi128ELi16ELi4ELi4ELi4ELi1ENST_IJLi8ELi2EEEES1Z_NST_IJLi8ELi1ELi1ELi4EEEENST_IJLi2ELi1ELi128ELi1EEEENST_IJLi1ELi2ELi0ELi3EEEES22_NST_IJLi4ELi1ELi1ELi4EEEES22_NST_IJLi1ELi1ELi1ELi4EEEES20_S21_S22_S22_S23_S22_S24_NST_IJLi0ELi1ELi2ELi3ELi4ELi5EEEELi5ELi4EEEaNS5_IJPKaEEEaS8_S8_S9_NSB_INS5_IJSE_SG_SI_SI_SI_SG_SG_SK_SK_SK_SG_SN_SN_SP_SP_SR_SG_SG_NSQ_INS5_IJiNS_17integral_constantIiLi128EEEEEELb0EEENSF_INS2A_IiLi4EEEEEEEENS5_IJSU_SV_SW_SX_SY_SZ_S10_S11_S12_S13_S14_S15_S16_S17_S18_S19_S1A_NST_IJLi23EEEES1J_NST_IJLi24EEEEEEENS5_IJS1C_S10_S11_S12_S13_S14_S1D_S1E_S1F_S1G_S1H_S17_S18_S1A_S19_S1I_S1J_NST_IJLi26EEEENST_IJLi27ELi28EEEENST_IJLi29EEEEEEENST_IJLi26ELi27ELi28ELi29EEEElEENSB_INS5_IJSR_SP_SP_SR_SG_SG_S2D_S2F_EEENS5_IJSU_SV_SW_SY_SX_SZ_S11_S10_EEENS5_IJS1P_SX_SY_S1Q_S11_S12_NST_IJLi9ELi10EEEES1D_EEENST_IJLi8ELi9ELi10ELi11EEEElEENS5_IJNSB_INS5_IJSK_SP_SP_NSQ_INS5_IJiNS2A_IiLi2EEENS2A_IiLi64EEEEEELb0EEES2Z_EEENS5_IJSU_SV_SW_SX_SY_EEENS5_IJS1P_SX_SY_NST_IJLi5ELi6ELi7EEEENST_IJLi8ELi9ELi10EEEEEEENST_IJLi5ELi6ELi7ELi8ELi9ELi10EEEElEEEEES36_NS_31BlockToCTileMap_M00_N00_M01_N01ILi128ELi128ES1Y_Lb0EEENS1_30ComputePtrOffsetOfStridedBatchILi1ELi1ELi1EvEELb0ELb0EEEvPKT0_S3E_T1_PT2_T3_T4_T5_iT6_T7_T8_T9_T10_T11_,comdat
	.globl	_ZN2ck16tensor_operation6device12_GLOBAL__N_137kernel_grouped_conv_fwd_dl_multiple_dINS_32GridwiseGemmDlMultipleD_km_kn_mnILi256EaiNS_5TupleIJaEEEaNS0_12element_wise11PassThroughES8_NS7_7AddReluELNS_25InMemoryDataOperationEnumE0ENS_16TensorDescriptorINS5_IJNS_5EmbedINS5_IJiiiiiEEESD_Lb0EEENS_11PassThroughIiEENS_3PadIiiiLb0EEESI_SI_SG_SG_NSC_INS5_IJiiEEESJ_Lb0EEESK_SK_SG_NS_23Merge_v2_magic_divisionINS5_IJiiiiEEEEESN_NS_8RightPadIiiLb0EEESP_NS_7UnMergeISJ_Lb0EEESG_EEENS5_IJNS_8SequenceIJLi0EEEENST_IJLi1EEEENST_IJLi2EEEENST_IJLi3EEEENST_IJLi4EEEENST_IJLi5EEEENST_IJLi6EEEENST_IJLi7EEEENST_IJLi8EEEENST_IJLi9EEEENST_IJLi10EEEENST_IJLi11ELi13ELi15ELi17EEEENST_IJLi12ELi14ELi16ELi18EEEENST_IJLi19EEEENST_IJLi20EEEENST_IJLi22EEEENST_IJLi21EEEEEEENS5_IJNST_IJLi1ELi2ELi3ELi4ELi5EEEES10_S11_S12_S13_S14_NST_IJLi11EEEENST_IJLi12ELi13EEEENST_IJLi14ELi15EEEENST_IJLi16ELi17EEEENST_IJLi18EEEES17_S18_S1A_S19_NST_IJLi23ELi24EEEENST_IJLi25EEEEEEENST_IJLi23ELi25ELi24EEEElEENSB_INS5_IJSR_SP_SP_SR_SG_EEENS5_IJSU_SV_SW_SY_SX_EEENS5_IJNST_IJLi1ELi2EEEESX_SY_NST_IJLi5ELi6EEEES11_EEENST_IJLi5ELi7ELi6EEEElEENSB_INS5_IJSK_SP_SP_EEENS5_IJSU_SV_SW_EEENS5_IJS1P_SX_SY_EEENST_IJLi3ELi4EEEElEELi128ELi128ELi16ELi4ELi4ELi4ELi1ENST_IJLi8ELi2EEEES1Z_NST_IJLi8ELi1ELi1ELi4EEEENST_IJLi2ELi1ELi128ELi1EEEENST_IJLi1ELi2ELi0ELi3EEEES22_NST_IJLi4ELi1ELi1ELi4EEEES22_NST_IJLi1ELi1ELi1ELi4EEEES20_S21_S22_S22_S23_S22_S24_NST_IJLi0ELi1ELi2ELi3ELi4ELi5EEEELi5ELi4EEEaNS5_IJPKaEEEaS8_S8_S9_NSB_INS5_IJSE_SG_SI_SI_SI_SG_SG_SK_SK_SK_SG_SN_SN_SP_SP_SR_SG_SG_NSQ_INS5_IJiNS_17integral_constantIiLi128EEEEEELb0EEENSF_INS2A_IiLi4EEEEEEEENS5_IJSU_SV_SW_SX_SY_SZ_S10_S11_S12_S13_S14_S15_S16_S17_S18_S19_S1A_NST_IJLi23EEEES1J_NST_IJLi24EEEEEEENS5_IJS1C_S10_S11_S12_S13_S14_S1D_S1E_S1F_S1G_S1H_S17_S18_S1A_S19_S1I_S1J_NST_IJLi26EEEENST_IJLi27ELi28EEEENST_IJLi29EEEEEEENST_IJLi26ELi27ELi28ELi29EEEElEENSB_INS5_IJSR_SP_SP_SR_SG_SG_S2D_S2F_EEENS5_IJSU_SV_SW_SY_SX_SZ_S11_S10_EEENS5_IJS1P_SX_SY_S1Q_S11_S12_NST_IJLi9ELi10EEEES1D_EEENST_IJLi8ELi9ELi10ELi11EEEElEENS5_IJNSB_INS5_IJSK_SP_SP_NSQ_INS5_IJiNS2A_IiLi2EEENS2A_IiLi64EEEEEELb0EEES2Z_EEENS5_IJSU_SV_SW_SX_SY_EEENS5_IJS1P_SX_SY_NST_IJLi5ELi6ELi7EEEENST_IJLi8ELi9ELi10EEEEEEENST_IJLi5ELi6ELi7ELi8ELi9ELi10EEEElEEEEES36_NS_31BlockToCTileMap_M00_N00_M01_N01ILi128ELi128ES1Y_Lb0EEENS1_30ComputePtrOffsetOfStridedBatchILi1ELi1ELi1EvEELb0ELb0EEEvPKT0_S3E_T1_PT2_T3_T4_T5_iT6_T7_T8_T9_T10_T11_ ; -- Begin function _ZN2ck16tensor_operation6device12_GLOBAL__N_137kernel_grouped_conv_fwd_dl_multiple_dINS_32GridwiseGemmDlMultipleD_km_kn_mnILi256EaiNS_5TupleIJaEEEaNS0_12element_wise11PassThroughES8_NS7_7AddReluELNS_25InMemoryDataOperationEnumE0ENS_16TensorDescriptorINS5_IJNS_5EmbedINS5_IJiiiiiEEESD_Lb0EEENS_11PassThroughIiEENS_3PadIiiiLb0EEESI_SI_SG_SG_NSC_INS5_IJiiEEESJ_Lb0EEESK_SK_SG_NS_23Merge_v2_magic_divisionINS5_IJiiiiEEEEESN_NS_8RightPadIiiLb0EEESP_NS_7UnMergeISJ_Lb0EEESG_EEENS5_IJNS_8SequenceIJLi0EEEENST_IJLi1EEEENST_IJLi2EEEENST_IJLi3EEEENST_IJLi4EEEENST_IJLi5EEEENST_IJLi6EEEENST_IJLi7EEEENST_IJLi8EEEENST_IJLi9EEEENST_IJLi10EEEENST_IJLi11ELi13ELi15ELi17EEEENST_IJLi12ELi14ELi16ELi18EEEENST_IJLi19EEEENST_IJLi20EEEENST_IJLi22EEEENST_IJLi21EEEEEEENS5_IJNST_IJLi1ELi2ELi3ELi4ELi5EEEES10_S11_S12_S13_S14_NST_IJLi11EEEENST_IJLi12ELi13EEEENST_IJLi14ELi15EEEENST_IJLi16ELi17EEEENST_IJLi18EEEES17_S18_S1A_S19_NST_IJLi23ELi24EEEENST_IJLi25EEEEEEENST_IJLi23ELi25ELi24EEEElEENSB_INS5_IJSR_SP_SP_SR_SG_EEENS5_IJSU_SV_SW_SY_SX_EEENS5_IJNST_IJLi1ELi2EEEESX_SY_NST_IJLi5ELi6EEEES11_EEENST_IJLi5ELi7ELi6EEEElEENSB_INS5_IJSK_SP_SP_EEENS5_IJSU_SV_SW_EEENS5_IJS1P_SX_SY_EEENST_IJLi3ELi4EEEElEELi128ELi128ELi16ELi4ELi4ELi4ELi1ENST_IJLi8ELi2EEEES1Z_NST_IJLi8ELi1ELi1ELi4EEEENST_IJLi2ELi1ELi128ELi1EEEENST_IJLi1ELi2ELi0ELi3EEEES22_NST_IJLi4ELi1ELi1ELi4EEEES22_NST_IJLi1ELi1ELi1ELi4EEEES20_S21_S22_S22_S23_S22_S24_NST_IJLi0ELi1ELi2ELi3ELi4ELi5EEEELi5ELi4EEEaNS5_IJPKaEEEaS8_S8_S9_NSB_INS5_IJSE_SG_SI_SI_SI_SG_SG_SK_SK_SK_SG_SN_SN_SP_SP_SR_SG_SG_NSQ_INS5_IJiNS_17integral_constantIiLi128EEEEEELb0EEENSF_INS2A_IiLi4EEEEEEEENS5_IJSU_SV_SW_SX_SY_SZ_S10_S11_S12_S13_S14_S15_S16_S17_S18_S19_S1A_NST_IJLi23EEEES1J_NST_IJLi24EEEEEEENS5_IJS1C_S10_S11_S12_S13_S14_S1D_S1E_S1F_S1G_S1H_S17_S18_S1A_S19_S1I_S1J_NST_IJLi26EEEENST_IJLi27ELi28EEEENST_IJLi29EEEEEEENST_IJLi26ELi27ELi28ELi29EEEElEENSB_INS5_IJSR_SP_SP_SR_SG_SG_S2D_S2F_EEENS5_IJSU_SV_SW_SY_SX_SZ_S11_S10_EEENS5_IJS1P_SX_SY_S1Q_S11_S12_NST_IJLi9ELi10EEEES1D_EEENST_IJLi8ELi9ELi10ELi11EEEElEENS5_IJNSB_INS5_IJSK_SP_SP_NSQ_INS5_IJiNS2A_IiLi2EEENS2A_IiLi64EEEEEELb0EEES2Z_EEENS5_IJSU_SV_SW_SX_SY_EEENS5_IJS1P_SX_SY_NST_IJLi5ELi6ELi7EEEENST_IJLi8ELi9ELi10EEEEEEENST_IJLi5ELi6ELi7ELi8ELi9ELi10EEEElEEEEES36_NS_31BlockToCTileMap_M00_N00_M01_N01ILi128ELi128ES1Y_Lb0EEENS1_30ComputePtrOffsetOfStridedBatchILi1ELi1ELi1EvEELb0ELb0EEEvPKT0_S3E_T1_PT2_T3_T4_T5_iT6_T7_T8_T9_T10_T11_
	.p2align	8
	.type	_ZN2ck16tensor_operation6device12_GLOBAL__N_137kernel_grouped_conv_fwd_dl_multiple_dINS_32GridwiseGemmDlMultipleD_km_kn_mnILi256EaiNS_5TupleIJaEEEaNS0_12element_wise11PassThroughES8_NS7_7AddReluELNS_25InMemoryDataOperationEnumE0ENS_16TensorDescriptorINS5_IJNS_5EmbedINS5_IJiiiiiEEESD_Lb0EEENS_11PassThroughIiEENS_3PadIiiiLb0EEESI_SI_SG_SG_NSC_INS5_IJiiEEESJ_Lb0EEESK_SK_SG_NS_23Merge_v2_magic_divisionINS5_IJiiiiEEEEESN_NS_8RightPadIiiLb0EEESP_NS_7UnMergeISJ_Lb0EEESG_EEENS5_IJNS_8SequenceIJLi0EEEENST_IJLi1EEEENST_IJLi2EEEENST_IJLi3EEEENST_IJLi4EEEENST_IJLi5EEEENST_IJLi6EEEENST_IJLi7EEEENST_IJLi8EEEENST_IJLi9EEEENST_IJLi10EEEENST_IJLi11ELi13ELi15ELi17EEEENST_IJLi12ELi14ELi16ELi18EEEENST_IJLi19EEEENST_IJLi20EEEENST_IJLi22EEEENST_IJLi21EEEEEEENS5_IJNST_IJLi1ELi2ELi3ELi4ELi5EEEES10_S11_S12_S13_S14_NST_IJLi11EEEENST_IJLi12ELi13EEEENST_IJLi14ELi15EEEENST_IJLi16ELi17EEEENST_IJLi18EEEES17_S18_S1A_S19_NST_IJLi23ELi24EEEENST_IJLi25EEEEEEENST_IJLi23ELi25ELi24EEEElEENSB_INS5_IJSR_SP_SP_SR_SG_EEENS5_IJSU_SV_SW_SY_SX_EEENS5_IJNST_IJLi1ELi2EEEESX_SY_NST_IJLi5ELi6EEEES11_EEENST_IJLi5ELi7ELi6EEEElEENSB_INS5_IJSK_SP_SP_EEENS5_IJSU_SV_SW_EEENS5_IJS1P_SX_SY_EEENST_IJLi3ELi4EEEElEELi128ELi128ELi16ELi4ELi4ELi4ELi1ENST_IJLi8ELi2EEEES1Z_NST_IJLi8ELi1ELi1ELi4EEEENST_IJLi2ELi1ELi128ELi1EEEENST_IJLi1ELi2ELi0ELi3EEEES22_NST_IJLi4ELi1ELi1ELi4EEEES22_NST_IJLi1ELi1ELi1ELi4EEEES20_S21_S22_S22_S23_S22_S24_NST_IJLi0ELi1ELi2ELi3ELi4ELi5EEEELi5ELi4EEEaNS5_IJPKaEEEaS8_S8_S9_NSB_INS5_IJSE_SG_SI_SI_SI_SG_SG_SK_SK_SK_SG_SN_SN_SP_SP_SR_SG_SG_NSQ_INS5_IJiNS_17integral_constantIiLi128EEEEEELb0EEENSF_INS2A_IiLi4EEEEEEEENS5_IJSU_SV_SW_SX_SY_SZ_S10_S11_S12_S13_S14_S15_S16_S17_S18_S19_S1A_NST_IJLi23EEEES1J_NST_IJLi24EEEEEEENS5_IJS1C_S10_S11_S12_S13_S14_S1D_S1E_S1F_S1G_S1H_S17_S18_S1A_S19_S1I_S1J_NST_IJLi26EEEENST_IJLi27ELi28EEEENST_IJLi29EEEEEEENST_IJLi26ELi27ELi28ELi29EEEElEENSB_INS5_IJSR_SP_SP_SR_SG_SG_S2D_S2F_EEENS5_IJSU_SV_SW_SY_SX_SZ_S11_S10_EEENS5_IJS1P_SX_SY_S1Q_S11_S12_NST_IJLi9ELi10EEEES1D_EEENST_IJLi8ELi9ELi10ELi11EEEElEENS5_IJNSB_INS5_IJSK_SP_SP_NSQ_INS5_IJiNS2A_IiLi2EEENS2A_IiLi64EEEEEELb0EEES2Z_EEENS5_IJSU_SV_SW_SX_SY_EEENS5_IJS1P_SX_SY_NST_IJLi5ELi6ELi7EEEENST_IJLi8ELi9ELi10EEEEEEENST_IJLi5ELi6ELi7ELi8ELi9ELi10EEEElEEEEES36_NS_31BlockToCTileMap_M00_N00_M01_N01ILi128ELi128ES1Y_Lb0EEENS1_30ComputePtrOffsetOfStridedBatchILi1ELi1ELi1EvEELb0ELb0EEEvPKT0_S3E_T1_PT2_T3_T4_T5_iT6_T7_T8_T9_T10_T11_,@function
_ZN2ck16tensor_operation6device12_GLOBAL__N_137kernel_grouped_conv_fwd_dl_multiple_dINS_32GridwiseGemmDlMultipleD_km_kn_mnILi256EaiNS_5TupleIJaEEEaNS0_12element_wise11PassThroughES8_NS7_7AddReluELNS_25InMemoryDataOperationEnumE0ENS_16TensorDescriptorINS5_IJNS_5EmbedINS5_IJiiiiiEEESD_Lb0EEENS_11PassThroughIiEENS_3PadIiiiLb0EEESI_SI_SG_SG_NSC_INS5_IJiiEEESJ_Lb0EEESK_SK_SG_NS_23Merge_v2_magic_divisionINS5_IJiiiiEEEEESN_NS_8RightPadIiiLb0EEESP_NS_7UnMergeISJ_Lb0EEESG_EEENS5_IJNS_8SequenceIJLi0EEEENST_IJLi1EEEENST_IJLi2EEEENST_IJLi3EEEENST_IJLi4EEEENST_IJLi5EEEENST_IJLi6EEEENST_IJLi7EEEENST_IJLi8EEEENST_IJLi9EEEENST_IJLi10EEEENST_IJLi11ELi13ELi15ELi17EEEENST_IJLi12ELi14ELi16ELi18EEEENST_IJLi19EEEENST_IJLi20EEEENST_IJLi22EEEENST_IJLi21EEEEEEENS5_IJNST_IJLi1ELi2ELi3ELi4ELi5EEEES10_S11_S12_S13_S14_NST_IJLi11EEEENST_IJLi12ELi13EEEENST_IJLi14ELi15EEEENST_IJLi16ELi17EEEENST_IJLi18EEEES17_S18_S1A_S19_NST_IJLi23ELi24EEEENST_IJLi25EEEEEEENST_IJLi23ELi25ELi24EEEElEENSB_INS5_IJSR_SP_SP_SR_SG_EEENS5_IJSU_SV_SW_SY_SX_EEENS5_IJNST_IJLi1ELi2EEEESX_SY_NST_IJLi5ELi6EEEES11_EEENST_IJLi5ELi7ELi6EEEElEENSB_INS5_IJSK_SP_SP_EEENS5_IJSU_SV_SW_EEENS5_IJS1P_SX_SY_EEENST_IJLi3ELi4EEEElEELi128ELi128ELi16ELi4ELi4ELi4ELi1ENST_IJLi8ELi2EEEES1Z_NST_IJLi8ELi1ELi1ELi4EEEENST_IJLi2ELi1ELi128ELi1EEEENST_IJLi1ELi2ELi0ELi3EEEES22_NST_IJLi4ELi1ELi1ELi4EEEES22_NST_IJLi1ELi1ELi1ELi4EEEES20_S21_S22_S22_S23_S22_S24_NST_IJLi0ELi1ELi2ELi3ELi4ELi5EEEELi5ELi4EEEaNS5_IJPKaEEEaS8_S8_S9_NSB_INS5_IJSE_SG_SI_SI_SI_SG_SG_SK_SK_SK_SG_SN_SN_SP_SP_SR_SG_SG_NSQ_INS5_IJiNS_17integral_constantIiLi128EEEEEELb0EEENSF_INS2A_IiLi4EEEEEEEENS5_IJSU_SV_SW_SX_SY_SZ_S10_S11_S12_S13_S14_S15_S16_S17_S18_S19_S1A_NST_IJLi23EEEES1J_NST_IJLi24EEEEEEENS5_IJS1C_S10_S11_S12_S13_S14_S1D_S1E_S1F_S1G_S1H_S17_S18_S1A_S19_S1I_S1J_NST_IJLi26EEEENST_IJLi27ELi28EEEENST_IJLi29EEEEEEENST_IJLi26ELi27ELi28ELi29EEEElEENSB_INS5_IJSR_SP_SP_SR_SG_SG_S2D_S2F_EEENS5_IJSU_SV_SW_SY_SX_SZ_S11_S10_EEENS5_IJS1P_SX_SY_S1Q_S11_S12_NST_IJLi9ELi10EEEES1D_EEENST_IJLi8ELi9ELi10ELi11EEEElEENS5_IJNSB_INS5_IJSK_SP_SP_NSQ_INS5_IJiNS2A_IiLi2EEENS2A_IiLi64EEEEEELb0EEES2Z_EEENS5_IJSU_SV_SW_SX_SY_EEENS5_IJS1P_SX_SY_NST_IJLi5ELi6ELi7EEEENST_IJLi8ELi9ELi10EEEEEEENST_IJLi5ELi6ELi7ELi8ELi9ELi10EEEElEEEEES36_NS_31BlockToCTileMap_M00_N00_M01_N01ILi128ELi128ES1Y_Lb0EEENS1_30ComputePtrOffsetOfStridedBatchILi1ELi1ELi1EvEELb0ELb0EEEvPKT0_S3E_T1_PT2_T3_T4_T5_iT6_T7_T8_T9_T10_T11_: ; @_ZN2ck16tensor_operation6device12_GLOBAL__N_137kernel_grouped_conv_fwd_dl_multiple_dINS_32GridwiseGemmDlMultipleD_km_kn_mnILi256EaiNS_5TupleIJaEEEaNS0_12element_wise11PassThroughES8_NS7_7AddReluELNS_25InMemoryDataOperationEnumE0ENS_16TensorDescriptorINS5_IJNS_5EmbedINS5_IJiiiiiEEESD_Lb0EEENS_11PassThroughIiEENS_3PadIiiiLb0EEESI_SI_SG_SG_NSC_INS5_IJiiEEESJ_Lb0EEESK_SK_SG_NS_23Merge_v2_magic_divisionINS5_IJiiiiEEEEESN_NS_8RightPadIiiLb0EEESP_NS_7UnMergeISJ_Lb0EEESG_EEENS5_IJNS_8SequenceIJLi0EEEENST_IJLi1EEEENST_IJLi2EEEENST_IJLi3EEEENST_IJLi4EEEENST_IJLi5EEEENST_IJLi6EEEENST_IJLi7EEEENST_IJLi8EEEENST_IJLi9EEEENST_IJLi10EEEENST_IJLi11ELi13ELi15ELi17EEEENST_IJLi12ELi14ELi16ELi18EEEENST_IJLi19EEEENST_IJLi20EEEENST_IJLi22EEEENST_IJLi21EEEEEEENS5_IJNST_IJLi1ELi2ELi3ELi4ELi5EEEES10_S11_S12_S13_S14_NST_IJLi11EEEENST_IJLi12ELi13EEEENST_IJLi14ELi15EEEENST_IJLi16ELi17EEEENST_IJLi18EEEES17_S18_S1A_S19_NST_IJLi23ELi24EEEENST_IJLi25EEEEEEENST_IJLi23ELi25ELi24EEEElEENSB_INS5_IJSR_SP_SP_SR_SG_EEENS5_IJSU_SV_SW_SY_SX_EEENS5_IJNST_IJLi1ELi2EEEESX_SY_NST_IJLi5ELi6EEEES11_EEENST_IJLi5ELi7ELi6EEEElEENSB_INS5_IJSK_SP_SP_EEENS5_IJSU_SV_SW_EEENS5_IJS1P_SX_SY_EEENST_IJLi3ELi4EEEElEELi128ELi128ELi16ELi4ELi4ELi4ELi1ENST_IJLi8ELi2EEEES1Z_NST_IJLi8ELi1ELi1ELi4EEEENST_IJLi2ELi1ELi128ELi1EEEENST_IJLi1ELi2ELi0ELi3EEEES22_NST_IJLi4ELi1ELi1ELi4EEEES22_NST_IJLi1ELi1ELi1ELi4EEEES20_S21_S22_S22_S23_S22_S24_NST_IJLi0ELi1ELi2ELi3ELi4ELi5EEEELi5ELi4EEEaNS5_IJPKaEEEaS8_S8_S9_NSB_INS5_IJSE_SG_SI_SI_SI_SG_SG_SK_SK_SK_SG_SN_SN_SP_SP_SR_SG_SG_NSQ_INS5_IJiNS_17integral_constantIiLi128EEEEEELb0EEENSF_INS2A_IiLi4EEEEEEEENS5_IJSU_SV_SW_SX_SY_SZ_S10_S11_S12_S13_S14_S15_S16_S17_S18_S19_S1A_NST_IJLi23EEEES1J_NST_IJLi24EEEEEEENS5_IJS1C_S10_S11_S12_S13_S14_S1D_S1E_S1F_S1G_S1H_S17_S18_S1A_S19_S1I_S1J_NST_IJLi26EEEENST_IJLi27ELi28EEEENST_IJLi29EEEEEEENST_IJLi26ELi27ELi28ELi29EEEElEENSB_INS5_IJSR_SP_SP_SR_SG_SG_S2D_S2F_EEENS5_IJSU_SV_SW_SY_SX_SZ_S11_S10_EEENS5_IJS1P_SX_SY_S1Q_S11_S12_NST_IJLi9ELi10EEEES1D_EEENST_IJLi8ELi9ELi10ELi11EEEElEENS5_IJNSB_INS5_IJSK_SP_SP_NSQ_INS5_IJiNS2A_IiLi2EEENS2A_IiLi64EEEEEELb0EEES2Z_EEENS5_IJSU_SV_SW_SX_SY_EEENS5_IJS1P_SX_SY_NST_IJLi5ELi6ELi7EEEENST_IJLi8ELi9ELi10EEEEEEENST_IJLi5ELi6ELi7ELi8ELi9ELi10EEEElEEEEES36_NS_31BlockToCTileMap_M00_N00_M01_N01ILi128ELi128ES1Y_Lb0EEENS1_30ComputePtrOffsetOfStridedBatchILi1ELi1ELi1EvEELb0ELb0EEEvPKT0_S3E_T1_PT2_T3_T4_T5_iT6_T7_T8_T9_T10_T11_
; %bb.0:
	s_clause 0x3
	s_load_b32 s2, s[0:1], 0x24
	s_load_b128 s[48:51], s[0:1], 0x3c
	s_load_b32 s14, s[0:1], 0x4c
	s_load_b32 s4, s[0:1], 0x300
	s_mov_b32 s60, 0
	s_mov_b64 s[44:45], src_shared_base
	s_mov_b32 s61, s60
	s_mov_b32 s62, s60
	s_mov_b32 s63, s60
	s_clause 0x1
	s_load_b256 s[68:75], s[0:1], 0x2d8
	s_load_b256 s[36:43], s[0:1], 0x0
	v_lshrrev_b32_e32 v27, 1, v0
	v_lshrrev_b32_e32 v7, 5, v0
	s_movk_i32 s32, 0x1c0
	v_dual_mov_b32 v34, 0 :: v_dual_lshlrev_b32 v5, 3, v0
	v_lshlrev_b32_e32 v11, 1, v0
	v_lshlrev_b32_e32 v0, 2, v0
	;; [unrolled: 1-line block ×3, first 2 shown]
	s_delay_alu instid0(VALU_DEP_4)
	v_mov_b32_e32 v9, v34
	s_waitcnt lgkmcnt(0)
	s_abs_i32 s3, s2
	v_mov_b32_e32 v36, v34
	v_cvt_f32_u32_e32 v1, s3
	s_sub_i32 s6, 0, s3
	s_abs_i32 s7, s4
	s_xor_b32 s2, s4, s2
	v_dual_mov_b32 v17, v34 :: v_dual_and_b32 v28, 8, v5
	v_rcp_iflag_f32_e32 v1, v1
	s_ashr_i32 s2, s2, 31
	v_mov_b32_e32 v6, v34
	v_mov_b32_e32 v10, v34
	;; [unrolled: 1-line block ×4, first 2 shown]
	v_or_b32_e32 v15, 4, v28
	s_waitcnt_depctr 0xfff
	v_dual_mov_b32 v22, s45 :: v_dual_mul_f32 v1, 0x4f7ffffe, v1
	s_delay_alu instid0(VALU_DEP_1) | instskip(NEXT) | instid1(VALU_DEP_1)
	v_cvt_u32_f32_e32 v1, v1
	v_readfirstlane_b32 s5, v1
	s_delay_alu instid0(VALU_DEP_1) | instskip(NEXT) | instid1(SALU_CYCLE_1)
	s_mul_i32 s6, s6, s5
	s_mul_hi_u32 s6, s5, s6
	s_delay_alu instid0(SALU_CYCLE_1) | instskip(NEXT) | instid1(SALU_CYCLE_1)
	s_add_i32 s5, s5, s6
	s_mul_hi_u32 s5, s7, s5
	s_delay_alu instid0(SALU_CYCLE_1) | instskip(SKIP_2) | instid1(SALU_CYCLE_1)
	s_mul_i32 s4, s5, s3
	s_add_i32 s6, s5, 1
	s_sub_i32 s4, s7, s4
	s_sub_i32 s7, s4, s3
	s_cmp_ge_u32 s4, s3
	s_cselect_b32 s5, s6, s5
	s_cselect_b32 s4, s7, s4
	s_add_i32 s6, s5, 1
	s_cmp_ge_u32 s4, s3
	s_cselect_b32 s3, s6, s5
	s_abs_i32 s52, s15
	s_xor_b32 s3, s3, s2
	s_delay_alu instid0(SALU_CYCLE_1)
	s_sub_i32 s13, s3, s2
	s_clause 0x3
	s_load_b256 s[16:23], s[0:1], 0x54
	s_load_b64 s[76:77], s[0:1], 0x88
	s_load_b64 s[2:3], s[0:1], 0x98
	;; [unrolled: 1-line block ×3, first 2 shown]
	s_abs_i32 s12, s13
	s_clause 0x2
	s_load_b256 s[24:31], s[0:1], 0xb8
	s_load_b128 s[64:67], s[0:1], 0xd8
	s_load_b256 s[4:11], s[0:1], 0xec
	v_cvt_f32_u32_e32 v1, s12
	s_waitcnt lgkmcnt(0)
	s_sub_i32 s7, 0, s12
	s_xor_b32 s13, s15, s13
	s_clause 0x3
	s_load_b128 s[56:59], s[0:1], 0x10c
	s_load_b32 s31, s[0:1], 0x120
	s_load_b32 s33, s[0:1], 0x12c
	;; [unrolled: 1-line block ×3, first 2 shown]
	s_ashr_i32 s13, s13, 31
	v_rcp_iflag_f32_e32 v1, v1
	s_waitcnt_depctr 0xfff
	v_mul_f32_e32 v1, 0x4f7ffffe, v1
	s_delay_alu instid0(VALU_DEP_1) | instskip(SKIP_3) | instid1(VALU_DEP_3)
	v_cvt_u32_f32_e32 v1, v1
	s_waitcnt lgkmcnt(0)
	v_mul_lo_u32 v29, s67, v28
	v_mul_lo_u32 v31, s67, v15
	v_readfirstlane_b32 s27, v1
	v_dual_mov_b32 v1, s60 :: v_dual_mov_b32 v4, s63
	v_dual_mov_b32 v2, s61 :: v_dual_mov_b32 v3, s62
	s_delay_alu instid0(VALU_DEP_3)
	s_mul_i32 s44, s7, s27
	s_clause 0x7
	s_load_b32 s46, s[0:1], 0x160
	s_load_b32 s47, s[0:1], 0x170
	s_load_b32 s7, s[0:1], 0x17c
	s_load_b32 s59, s[0:1], 0x188
	s_load_b32 s55, s[0:1], 0x198
	s_load_b32 s54, s[0:1], 0x1c0
	s_load_b64 s[34:35], s[0:1], 0x1d0
	s_load_b32 s11, s[0:1], 0x1dc
	s_mul_hi_u32 s44, s27, s44
	s_clause 0x1
	s_load_b32 s80, s[0:1], 0x27c
	s_load_b32 s81, s[0:1], 0x28c
	s_add_i32 s27, s27, s44
	v_mul_hi_u32 v5, v29, s10
	s_mul_hi_u32 s27, s52, s27
	v_mov_b32_e32 v8, v34
	s_mul_i32 s44, s27, s12
	v_cmp_gt_i32_e32 vcc_lo, s33, v29
	s_sub_i32 s44, s52, s44
	s_add_i32 s52, s27, 1
	s_sub_i32 s53, s44, s12
	v_add_nc_u32_e32 v5, v29, v5
	s_cmp_ge_u32 s44, s12
	s_cselect_b32 s27, s52, s27
	s_cselect_b32 s44, s53, s44
	s_add_i32 s52, s27, 1
	s_cmp_ge_u32 s44, s12
	v_lshrrev_b32_e32 v23, s58, v5
	s_cselect_b32 s12, s52, s27
	v_and_b32_e32 v5, 0x1f8, v11
	s_xor_b32 s12, s12, s13
	v_and_b32_e32 v11, 0x1fc, v11
	s_sub_i32 s12, s12, s13
	v_mul_hi_u32 v15, v23, s9
	s_ashr_i32 s13, s12, 31
	s_mul_hi_u32 s27, s68, s12
	s_mul_i32 s44, s69, s12
	s_mul_i32 s52, s68, s12
	s_mul_hi_u32 s53, s70, s12
	s_mul_i32 s82, s71, s12
	s_mul_i32 s83, s70, s12
	;; [unrolled: 3-line block ×4, first 2 shown]
	s_mul_i32 s68, s68, s13
	s_mul_i32 s69, s70, s13
	;; [unrolled: 1-line block ×4, first 2 shown]
	s_clause 0x1
	s_load_b128 s[60:63], s[0:1], 0x298
	s_load_b128 s[72:75], s[0:1], 0x2ac
	s_add_i32 s27, s27, s68
	s_add_i32 s45, s53, s69
	s_load_b128 s[68:71], s[0:1], 0x2c0
	s_add_i32 s53, s84, s89
	s_add_i32 s13, s87, s13
	;; [unrolled: 1-line block ×6, first 2 shown]
	s_add_u32 s40, s40, s12
	s_addc_u32 s41, s41, s13
	s_add_u32 s44, s36, s52
	s_addc_u32 s45, s37, s27
	;; [unrolled: 2-line block ×4, first 2 shown]
	v_dual_mov_b32 v16, v34 :: v_dual_add_nc_u32 v15, v23, v15
	s_waitcnt lgkmcnt(0)
	s_mul_hi_u32 s75, s75, s15
	v_sub_nc_u32_e32 v13, v5, v13
	s_add_i32 s27, s15, s75
	v_sub_nc_u32_e32 v5, v11, v5
	s_lshr_b32 s36, s27, s71
	v_mul_hi_u32 v11, v31, s10
	s_mul_hi_u32 s27, s36, s74
	v_lshrrev_b32_e32 v25, s57, v15
	s_add_i32 s27, s36, s27
	v_lshl_add_u32 v35, v7, 3, v5
	s_lshr_b32 s37, s27, s70
	v_and_or_b32 v37, v0, 4, v13
	s_mul_hi_u32 s27, s37, s73
	s_mul_i32 s39, s37, s62
	s_add_i32 s27, s37, s27
	s_sub_i32 s39, s36, s39
	s_lshr_b32 s38, s27, s69
	v_dual_mov_b32 v20, v34 :: v_dual_lshlrev_b32 v5, 2, v35
	s_mul_hi_u32 s27, s38, s72
	v_mov_b32_e32 v7, v35
	s_add_i32 s27, s38, s27
	v_mul_hi_u32 v26, v25, s8
	s_lshr_b32 s27, s27, s68
	v_dual_mov_b32 v18, v34 :: v_dual_add_nc_u32 v11, v31, v11
	s_mul_i32 s27, s27, s60
	s_clause 0x1
	scratch_store_b128 off, v[1:4], off offset:144
	scratch_store_b128 off, v[1:4], off offset:160
	s_sub_i32 s27, s38, s27
	s_clause 0x1
	scratch_store_b128 off, v[1:4], off offset:176
	scratch_store_b128 off, v[1:4], off offset:192
	s_mul_i32 s27, s27, s80
	s_clause 0x1
	scratch_store_b128 off, v[1:4], off offset:208
	scratch_store_b128 off, v[1:4], off offset:224
	s_add_i32 s39, s39, s27
	s_clause 0x1
	scratch_store_b128 off, v[1:4], off offset:240
	scratch_store_b128 off, v[1:4], off offset:256
	s_lshl_b32 s27, s39, 7
	s_clause 0x1
	scratch_store_b128 off, v[1:4], off offset:272
	scratch_store_b128 off, v[1:4], off offset:288
	v_or_b32_e32 v30, s27, v27
	s_clause 0x7
	scratch_store_b128 off, v[1:4], off offset:304
	scratch_store_b128 off, v[1:4], off offset:320
	;; [unrolled: 1-line block ×8, first 2 shown]
	v_dual_mov_b32 v21, v34 :: v_dual_add_nc_u32 v26, v25, v26
	v_mul_hi_u32 v19, v30, s30
	v_lshrrev_b32_e32 v32, s58, v11
	v_mov_b32_e32 v11, v35
	v_mul_lo_u32 v0, s55, v28
	v_lshlrev_b32_e32 v13, 2, v37
	v_mov_b32_e32 v15, v37
	v_mul_hi_u32 v38, v32, s9
	v_mul_lo_u32 v6, v25, s5
	v_add_nc_u32_e32 v19, v30, v19
	s_mul_i32 s38, s38, s61
	v_mul_lo_u32 v33, v23, s6
	s_mul_i32 s36, s36, s63
	s_sub_i32 s16, s16, s18
	v_lshrrev_b32_e32 v24, s66, v19
	v_add_nc_u32_e32 v7, v32, v38
	v_sub_nc_u32_e32 v6, v23, v6
	s_sub_i32 s9, s15, s36
	s_delay_alu instid0(VALU_DEP_3) | instskip(SKIP_1) | instid1(VALU_DEP_2)
	v_mul_hi_u32 v19, v24, s29
	v_sub_nc_u32_e32 v5, v29, v33
	v_add_nc_u32_e32 v39, v24, v19
	v_mov_b32_e32 v19, v37
	s_clause 0x2
	scratch_store_b128 off, v[9:12], off offset:96
	scratch_store_b128 off, v[13:16], off offset:112
	;; [unrolled: 1-line block ×3, first 2 shown]
	v_lshrrev_b32_e32 v36, s65, v39
	v_lshrrev_b32_e32 v39, s56, v26
	v_mul_lo_u32 v15, v24, s26
	v_lshrrev_b32_e32 v12, s57, v7
	v_mul_lo_u32 v13, v5, s14
	v_mul_hi_u32 v8, v36, s28
	v_mul_lo_u32 v26, v39, s4
	v_mul_lo_u32 v16, v36, s25
	;; [unrolled: 1-line block ×3, first 2 shown]
	v_mul_hi_u32 v11, v12, s8
	v_sub_nc_u32_e32 v15, v30, v15
	s_sub_i32 s8, s37, s38
	s_clause 0x1
	scratch_store_b64 off, v[21:22], off offset:400
	scratch_store_b8 off, v34, off offset:409
	v_add_nc_u32_e32 v10, v36, v8
	v_sub_nc_u32_e32 v7, v25, v26
	v_mul_lo_u32 v8, v6, s78
	v_sub_nc_u32_e32 v16, v24, v16
	s_mul_i32 s8, s8, s81
	v_lshrrev_b32_e32 v14, s64, v10
	v_mul_lo_u32 v10, v7, s2
	s_add_i32 s9, s9, s8
	v_cmp_gt_i32_e64 s8, s31, v30
	s_lshl_b32 s15, s9, 7
	v_mul_lo_u32 v17, v14, s24
	v_mad_u64_u32 v[23:24], null, v15, s79, v[8:9]
	v_mul_lo_u32 v14, v14, s48
	v_mad_u64_u32 v[24:25], null, v16, s3, v[10:11]
	v_add_nc_u32_e32 v11, v12, v11
	s_lshl_b32 s3, s55, 2
	v_sub_nc_u32_e32 v17, v36, v17
	s_delay_alu instid0(VALU_DEP_2) | instskip(NEXT) | instid1(VALU_DEP_4)
	v_lshrrev_b32_e32 v18, s56, v11
	v_subrev_nc_u32_e32 v15, s20, v24
	s_delay_alu instid0(VALU_DEP_3)
	v_mad_u64_u32 v[25:26], null, v17, s77, v[9:10]
	v_mad_u64_u32 v[8:9], null, v12, s5, v[6:7]
	v_or_b32_e32 v26, s15, v27
	v_subrev_nc_u32_e32 v6, s23, v23
	v_mul_lo_u32 v15, v15, s50
	v_cmp_le_i32_e64 s5, s23, v23
	v_subrev_nc_u32_e32 v16, s17, v25
	v_mad_u64_u32 v[9:10], null, v26, s47, v[0:1]
	v_sub_nc_u32_e32 v8, v32, v8
	v_mul_lo_u32 v17, v6, s51
	v_mad_u64_u32 v[10:11], null, v32, s6, v[5:6]
	v_mul_lo_u32 v16, v16, s49
	s_delay_alu instid0(VALU_DEP_4)
	v_mad_u64_u32 v[5:6], null, v18, s4, v[7:8]
	v_sub_nc_u32_e32 v6, v18, v39
	s_mov_b32 s47, 0x31004000
	v_add3_u32 v13, v17, v13, v15
	v_sub_nc_u32_e32 v10, v31, v10
	s_mov_b32 s55, s47
	s_load_b32 s4, s[0:1], 0x74
	s_delay_alu instid0(VALU_DEP_4)
	v_sub_nc_u32_e32 v11, v12, v5
	v_add_nc_u32_e32 v12, s3, v9
	v_mul_lo_u32 v20, v10, s14
	v_add3_u32 v13, v13, v14, v16
	s_sub_i32 s14, s19, s21
	v_mul_lo_u32 v32, v11, s2
	v_mov_b32_e32 v21, 0x4000
	s_clause 0x1
	scratch_store_b64 off, v[21:22], off offset:416
	scratch_store_b8 off, v34, off offset:425
	v_mul_lo_u32 v21, v6, s76
	v_mul_lo_u32 v22, v8, s78
	buffer_load_b128 v[5:8], v9, s[52:55], 0 offen
	v_mul_lo_u32 v15, v32, s50
	buffer_load_b128 v[9:12], v12, s[52:55], 0 offen
	v_cmp_gt_i32_e64 s2, s33, v31
	v_cmp_gt_i32_e64 s7, s7, v26
	s_waitcnt lgkmcnt(0)
	s_sub_i32 s10, s22, s4
	v_mul_lo_u32 v18, v21, s49
	v_mul_lo_u32 v19, v22, s51
	v_cmp_gt_i32_e64 s6, s10, v23
	s_delay_alu instid0(VALU_DEP_1) | instskip(SKIP_1) | instid1(VALU_DEP_3)
	s_and_b32 s18, s5, s6
	v_cmp_le_i32_e64 s5, s20, v24
	v_add3_u32 v14, v19, v20, v18
	v_cmp_gt_i32_e64 s6, s14, v24
	s_delay_alu instid0(VALU_DEP_2)
	v_add3_u32 v17, v14, v15, v13
	s_clause 0x1
	buffer_load_b128 v[13:16], v13, s[44:47], 0 offen
	buffer_load_b128 v[17:20], v17, s[44:47], 0 offen
	v_lshlrev_b32_e32 v27, 2, v27
	v_add_nc_u32_e32 v21, v25, v21
	s_delay_alu instid0(VALU_DEP_2) | instskip(SKIP_3) | instid1(VALU_DEP_3)
	v_lshl_or_b32 v27, v28, 9, v27
	v_add_nc_u32_e32 v28, s3, v0
	v_cmp_gt_i32_e64 s3, s59, v0
	v_add_nc_u32_e32 v0, v23, v22
	v_cmp_gt_i32_e64 s4, s59, v28
	s_delay_alu instid0(VALU_DEP_2) | instskip(SKIP_2) | instid1(VALU_DEP_2)
	v_cmp_le_i32_e64 s9, s23, v0
	v_cmp_gt_i32_e64 s10, s10, v0
	v_add_nc_u32_e32 v0, v24, v32
	s_and_b32 s9, s9, s10
	s_and_b32 s10, vcc_lo, s18
	s_and_b32 s18, s2, s9
	s_delay_alu instid0(VALU_DEP_1)
	v_cmp_le_i32_e32 vcc_lo, s20, v0
	v_cmp_gt_i32_e64 s2, s14, v0
	s_and_b32 s9, s5, s6
	v_cmp_le_i32_e64 s5, s17, v25
	v_cmp_gt_i32_e64 s6, s16, v25
	s_and_b32 s14, s10, s9
	s_and_b32 s2, vcc_lo, s2
	s_and_b32 vcc_lo, s3, s7
	v_cmp_le_i32_e64 s9, s17, v21
	v_cmp_gt_i32_e64 s10, s16, v21
	s_and_b32 s5, s5, s6
	s_and_b32 s2, s18, s2
	s_and_b32 s5, s14, s5
	s_delay_alu instid0(VALU_DEP_1) | instskip(NEXT) | instid1(SALU_CYCLE_1)
	s_and_b32 s6, s9, s10
	s_and_b32 s2, s2, s6
	s_waitcnt vmcnt(3)
	v_dual_cndmask_b32 v0, 0, v8 :: v_dual_cndmask_b32 v7, 0, v7
	v_dual_cndmask_b32 v6, 0, v6 :: v_dual_cndmask_b32 v5, 0, v5
	s_and_b32 vcc_lo, s4, s7
	s_waitcnt vmcnt(2)
	v_dual_cndmask_b32 v9, 0, v9 :: v_dual_cndmask_b32 v10, 0, v10
	s_delay_alu instid0(VALU_DEP_2) | instskip(SKIP_2) | instid1(VALU_DEP_4)
	v_perm_b32 v5, v5, v5, 0x3020104
	v_perm_b32 v7, v7, v7, 0x3020104
	v_cndmask_b32_e32 v11, 0, v11, vcc_lo
	v_perm_b32 v9, v9, v9, 0x3020104
	v_cndmask_b32_e32 v8, 0, v12, vcc_lo
	s_and_b32 vcc_lo, s8, s5
	ds_store_2addr_stride64_b32 v27, v5, v6 offset0:64 offset1:66
	ds_store_2addr_stride64_b32 v27, v7, v0 offset0:68 offset1:70
	v_perm_b32 v0, v11, v11, 0x3020104
	ds_store_2addr_stride64_b32 v27, v9, v10 offset0:72 offset1:74
	s_waitcnt vmcnt(1)
	v_dual_cndmask_b32 v5, 0, v16 :: v_dual_cndmask_b32 v6, 0, v15
	v_cndmask_b32_e32 v7, 0, v14, vcc_lo
	v_cndmask_b32_e32 v9, 0, v13, vcc_lo
	s_and_b32 vcc_lo, s8, s2
	s_getpc_b64 s[4:5]
	s_add_u32 s4, s4, _ZNK2ck6detail15static_for_implINS_8SequenceIJLi1ELi2ELi3ELi4ELi5ELi6ELi7ELi8ELi9ELi10ELi11ELi12ELi13ELi14ELi15EEEEEclIZNKS_80BlockwiseGemmDl_A_BK0_BM_BK1_B_BK0_BN_BK1_C_BM0_BM1_BN0_BN1_pipeline_BM0_2_BN0_2ILi256EaaiKNS_16TensorDescriptorINS_5TupleIJNS_5EmbedINS8_IJNS_17integral_constantIiLi16EEENSA_IiLi128EEENSA_IiLi4EEEEEENS8_IJNSA_IiLi512EEESD_NSA_IiLi1EEEEEELb0EEEEEENS8_IJNS2_IJLi0EEEEEEENS8_IJNS2_IJLi1ELi2ELi3EEEEEEESM_NSA_IlLl8192EEEEESQ_Li4ELi4ELi1ENS2_IJLi8ELi2EEEESR_Li4ELi4ELb0EE3RunINS7_INS8_IJNS_7UnMergeINS8_IJNSA_IiLi2EEESD_SV_SD_EEELb0EEEEEESL_NS8_IJNS2_IJLi1ELi2ELi3ELi4EEEEEEESZ_NSA_IlLl64EEEEENS_13DynamicBufferILNS_16AddressSpaceEnumE2EaSO_Lb1ELNS_22AmdBufferCoherenceEnumE0EiEES16_NS_12StaticBufferILS14_4EiLi64ELb1EEEEEvRKT_RKT0_RKT1_RT2_EUlS19_E_EEvS19_@rel32@lo+4
	s_addc_u32 s5, s5, _ZNK2ck6detail15static_for_implINS_8SequenceIJLi1ELi2ELi3ELi4ELi5ELi6ELi7ELi8ELi9ELi10ELi11ELi12ELi13ELi14ELi15EEEEEclIZNKS_80BlockwiseGemmDl_A_BK0_BM_BK1_B_BK0_BN_BK1_C_BM0_BM1_BN0_BN1_pipeline_BM0_2_BN0_2ILi256EaaiKNS_16TensorDescriptorINS_5TupleIJNS_5EmbedINS8_IJNS_17integral_constantIiLi16EEENSA_IiLi128EEENSA_IiLi4EEEEEENS8_IJNSA_IiLi512EEESD_NSA_IiLi1EEEEEELb0EEEEEENS8_IJNS2_IJLi0EEEEEEENS8_IJNS2_IJLi1ELi2ELi3EEEEEEESM_NSA_IlLl8192EEEEESQ_Li4ELi4ELi1ENS2_IJLi8ELi2EEEESR_Li4ELi4ELb0EE3RunINS7_INS8_IJNS_7UnMergeINS8_IJNSA_IiLi2EEESD_SV_SD_EEELb0EEEEEESL_NS8_IJNS2_IJLi1ELi2ELi3ELi4EEEEEEESZ_NSA_IlLl64EEEEENS_13DynamicBufferILNS_16AddressSpaceEnumE2EaSO_Lb1ELNS_22AmdBufferCoherenceEnumE0EiEES16_NS_12StaticBufferILS14_4EiLi64ELb1EEEEEvRKT_RKT0_RKT1_RT2_EUlS19_E_EEvS19_@rel32@hi+12
	s_waitcnt vmcnt(0)
	v_dual_cndmask_b32 v11, 0, v17 :: v_dual_cndmask_b32 v12, 0, v19
	v_perm_b32 v9, v9, v9, 0x3020104
	v_perm_b32 v6, v6, v6, 0x3020104
	v_cndmask_b32_e32 v13, 0, v18, vcc_lo
	s_delay_alu instid0(VALU_DEP_4)
	v_perm_b32 v11, v11, v11, 0x3020104
	v_cndmask_b32_e32 v10, 0, v20, vcc_lo
	v_perm_b32 v12, v12, v12, 0x3020104
	ds_store_2addr_stride64_b32 v27, v0, v8 offset0:76 offset1:78
	ds_store_2addr_stride64_b32 v27, v9, v7 offset1:2
	ds_store_2addr_stride64_b32 v27, v6, v5 offset0:4 offset1:6
	ds_store_2addr_stride64_b32 v27, v11, v13 offset0:8 offset1:10
	;; [unrolled: 1-line block ×3, first 2 shown]
	s_waitcnt lgkmcnt(0)
	s_waitcnt_vscnt null, 0x0
	s_barrier
	buffer_gl0_inv
	s_clause 0x3
	scratch_load_b32 v0, off, off offset:80
	scratch_load_b64 v[5:6], off, off offset:400
	scratch_load_b32 v9, off, off offset:112
	scratch_load_b64 v[7:8], off, off offset:416
	s_clause 0x3
	scratch_store_b128 off, v[1:4], off
	scratch_store_b128 off, v[1:4], off offset:16
	scratch_store_b128 off, v[1:4], off offset:32
	;; [unrolled: 1-line block ×3, first 2 shown]
	s_waitcnt vmcnt(3)
	v_ashrrev_i32_e32 v10, 31, v0
	s_waitcnt vmcnt(2)
	v_add_co_u32 v32, vcc_lo, v5, v0
	s_waitcnt vmcnt(1)
	v_ashrrev_i32_e32 v4, 31, v9
	v_add_co_ci_u32_e32 v33, vcc_lo, v6, v10, vcc_lo
	s_waitcnt vmcnt(0)
	v_add_co_u32 v9, vcc_lo, v7, v9
	s_delay_alu instid0(VALU_DEP_3)
	v_add_co_ci_u32_e32 v10, vcc_lo, v8, v4, vcc_lo
	flat_load_b128 v[0:3], v[32:33]
	s_waitcnt vmcnt(0) lgkmcnt(0)
	scratch_store_b128 off, v[0:3], off
	flat_load_b128 v[4:7], v[9:10]
	s_waitcnt vmcnt(0) lgkmcnt(0)
	scratch_store_b128 off, v[4:7], off offset:32
	flat_load_b128 v[8:11], v[9:10] offset:256
	s_clause 0x7
	scratch_load_b128 v[12:15], off, off offset:144
	scratch_load_b128 v[16:19], off, off offset:176
	scratch_load_b128 v[20:23], off, off offset:208
	scratch_load_b128 v[24:27], off, off offset:240
	scratch_load_b128 v[28:31], off, off offset:160
	scratch_load_b128 v[38:41], off, off offset:192
	scratch_load_b128 v[42:45], off, off offset:224
	scratch_load_b128 v[46:49], off, off offset:256
	s_waitcnt vmcnt(8) lgkmcnt(0)
	scratch_store_b128 off, v[8:11], off offset:48
	flat_load_b128 v[50:53], v[32:33] offset:256
	s_clause 0x5
	s_load_b32 s2, s[0:1], 0x1e8
	s_load_b32 s42, s[0:1], 0x210
	s_load_b64 s[16:17], s[0:1], 0x220
	s_load_b32 s18, s[0:1], 0x22c
	s_load_b32 s3, s[0:1], 0x238
	;; [unrolled: 1-line block ×3, first 2 shown]
	s_waitcnt vmcnt(8)
	v_dot4_i32_iu8 v12, v0, v4, v12 neg_lo:[1,1,0]
	v_dot4_i32_iu8 v13, v0, v5, v13 neg_lo:[1,1,0]
	v_dot4_i32_iu8 v14, v0, v6, v14 neg_lo:[1,1,0]
	v_dot4_i32_iu8 v15, v0, v7, v15 neg_lo:[1,1,0]
	s_waitcnt vmcnt(7)
	v_dot4_i32_iu8 v16, v1, v4, v16 neg_lo:[1,1,0]
	v_dot4_i32_iu8 v17, v1, v5, v17 neg_lo:[1,1,0]
	v_dot4_i32_iu8 v18, v1, v6, v18 neg_lo:[1,1,0]
	v_dot4_i32_iu8 v19, v1, v7, v19 neg_lo:[1,1,0]
	;; [unrolled: 5-line block ×5, first 2 shown]
	s_mov_b64 s[0:1], src_private_base
	s_waitcnt vmcnt(3)
	v_dot4_i32_iu8 v28, v1, v8, v38 neg_lo:[1,1,0]
	v_dot4_i32_iu8 v29, v1, v9, v39 neg_lo:[1,1,0]
	v_dot4_i32_iu8 v30, v1, v10, v40 neg_lo:[1,1,0]
	v_dot4_i32_iu8 v31, v1, v11, v41 neg_lo:[1,1,0]
	s_waitcnt vmcnt(2)
	v_dot4_i32_iu8 v38, v2, v8, v42 neg_lo:[1,1,0]
	v_dot4_i32_iu8 v39, v2, v9, v43 neg_lo:[1,1,0]
	;; [unrolled: 1-line block ×4, first 2 shown]
	s_waitcnt vmcnt(1)
	v_dot4_i32_iu8 v0, v3, v8, v46 neg_lo:[1,1,0]
	v_dot4_i32_iu8 v1, v3, v9, v47 neg_lo:[1,1,0]
	;; [unrolled: 1-line block ×3, first 2 shown]
	v_mov_b32_e32 v10, 0x1a0
	v_dot4_i32_iu8 v3, v3, v11, v49 neg_lo:[1,1,0]
	v_dual_mov_b32 v8, 0x90 :: v_dual_mov_b32 v9, s1
	v_mov_b32_e32 v11, s1
	s_clause 0x7
	scratch_store_b128 off, v[12:15], off offset:144
	scratch_store_b128 off, v[24:27], off offset:160
	;; [unrolled: 1-line block ×8, first 2 shown]
	s_waitcnt vmcnt(0) lgkmcnt(0)
	scratch_store_b128 off, v[50:53], off offset:16
	v_mov_b32_e32 v0, 64
	v_mov_b32_e32 v2, 0x190
	v_mov_b32_e32 v4, 0
	v_dual_mov_b32 v6, 32 :: v_dual_mov_b32 v1, s1
	v_mov_b32_e32 v3, s1
	v_mov_b32_e32 v5, s1
	v_mov_b32_e32 v7, s1
	s_swappc_b64 s[30:31], s[4:5]
	s_clause 0xd
	scratch_load_b32 v36, off, off offset:16
	scratch_load_b32 v62, off, off offset:32
	scratch_load_b128 v[0:3], off, off offset:272
	scratch_load_b128 v[4:7], off, off offset:32
	;; [unrolled: 1-line block ×6, first 2 shown]
	scratch_load_b32 v38, off, off offset:48
	scratch_load_b128 v[28:31], off, off offset:288
	scratch_load_b128 v[42:45], off, off offset:48
	;; [unrolled: 1-line block ×5, first 2 shown]
	v_add_nc_u32_e32 v53, s27, v35
	v_add_nc_u32_e32 v52, s15, v37
	s_mov_b32 s43, s47
	s_lshl_b32 s4, s35, 6
	s_lshl_b32 s19, s17, 6
	s_waitcnt vmcnt(10)
	v_mul_lo_u32 v4, v53, s34
	v_cmp_gt_i32_e64 s0, s2, v52
	v_cmp_gt_i32_e64 s1, s11, v53
	s_add_i32 s21, s17, s16
	s_mov_b32 s15, s47
	s_lshl_b32 s20, s16, 6
	s_delay_alu instid0(VALU_DEP_1)
	s_and_b32 vcc_lo, s1, s0
	v_dot4_i32_iu8 v32, v36, v62, v0 neg_lo:[1,1,0]
	v_mad_u64_u32 v[50:51], null, v52, s35, v[4:5]
	v_dot4_i32_iu8 v33, v36, v5, v1 neg_lo:[1,1,0]
	v_dot4_i32_iu8 v34, v36, v6, v2 neg_lo:[1,1,0]
	;; [unrolled: 1-line block ×3, first 2 shown]
	s_waitcnt vmcnt(4)
	v_dot4_i32_iu8 v28, v36, v38, v28 neg_lo:[1,1,0]
	s_waitcnt vmcnt(3)
	v_dot4_i32_iu8 v29, v36, v43, v29 neg_lo:[1,1,0]
	v_dot4_i32_iu8 v30, v36, v44, v30 neg_lo:[1,1,0]
	;; [unrolled: 1-line block ×11, first 2 shown]
	s_waitcnt vmcnt(2)
	v_dot4_i32_iu8 v20, v39, v38, v46 neg_lo:[1,1,0]
	v_dot4_i32_iu8 v21, v39, v43, v47 neg_lo:[1,1,0]
	;; [unrolled: 1-line block ×8, first 2 shown]
	s_waitcnt vmcnt(1)
	v_dot4_i32_iu8 v12, v40, v38, v54 neg_lo:[1,1,0]
	v_dot4_i32_iu8 v13, v40, v43, v55 neg_lo:[1,1,0]
	;; [unrolled: 1-line block ×4, first 2 shown]
	s_waitcnt vmcnt(0)
	v_dot4_i32_iu8 v4, v41, v38, v58 neg_lo:[1,1,0]
	v_dot4_i32_iu8 v5, v41, v43, v59 neg_lo:[1,1,0]
	;; [unrolled: 1-line block ×4, first 2 shown]
	s_clause 0x7
	scratch_store_b128 off, v[32:35], off offset:272
	scratch_store_b128 off, v[28:31], off offset:288
	;; [unrolled: 1-line block ×8, first 2 shown]
	buffer_load_b32 v36, v50, s[40:43], 0 offen
	scratch_load_b128 v[0:3], off, off offset:144
	s_waitcnt vmcnt(1)
	v_cndmask_b32_e32 v40, 0, v36, vcc_lo
	scratch_load_b128 v[36:39], off, off offset:160
	v_or_b32_e32 v55, 1, v53
	v_or_b32_e32 v68, 2, v53
	;; [unrolled: 1-line block ×3, first 2 shown]
	v_lshrrev_b32_e32 v41, 8, v40
	v_lshrrev_b32_e32 v42, 16, v40
	;; [unrolled: 1-line block ×3, first 2 shown]
	s_waitcnt vmcnt(1)
	v_add_nc_u16 v0, v40, v0
	v_add_nc_u32_e32 v40, s4, v50
	v_add_nc_u16 v1, v41, v1
	v_add_nc_u16 v2, v42, v2
	;; [unrolled: 1-line block ×3, first 2 shown]
	v_bfe_i32 v0, v0, 0, 8
	s_delay_alu instid0(VALU_DEP_4) | instskip(NEXT) | instid1(VALU_DEP_4)
	v_bfe_i32 v1, v1, 0, 8
	v_bfe_i32 v2, v2, 0, 8
	s_delay_alu instid0(VALU_DEP_4) | instskip(NEXT) | instid1(VALU_DEP_4)
	v_bfe_i32 v3, v3, 0, 8
	v_max_i16 v0, v0, 0
	s_delay_alu instid0(VALU_DEP_4) | instskip(NEXT) | instid1(VALU_DEP_4)
	v_max_i16 v1, v1, 0
	v_max_i16 v54, v2, 0
	s_delay_alu instid0(VALU_DEP_4) | instskip(NEXT) | instid1(VALU_DEP_4)
	v_max_i16 v3, v3, 0
	v_and_b32_e32 v0, 0xffff, v0
	s_delay_alu instid0(VALU_DEP_4) | instskip(NEXT) | instid1(VALU_DEP_4)
	v_and_b32_e32 v1, 0xffff, v1
	v_and_b32_e32 v2, 0xffff, v54
	s_delay_alu instid0(VALU_DEP_4) | instskip(SKIP_4) | instid1(VALU_DEP_2)
	v_and_b32_e32 v3, 0xffff, v3
	scratch_store_b128 off, v[0:3], off offset:144
	buffer_load_b32 v41, v40, s[40:43], 0 offen
	v_add_nc_u32_e32 v2, 64, v52
	v_lshlrev_b32_e32 v3, 24, v3
	v_cmp_gt_i32_e32 vcc_lo, s2, v2
	s_add_i32 s2, s4, s34
	s_and_b32 s1, s1, vcc_lo
	s_waitcnt vmcnt(0)
	v_cndmask_b32_e64 v41, 0, v41, s1
	s_lshl_b32 s1, s35, 7
	s_delay_alu instid0(SALU_CYCLE_1) | instskip(SKIP_1) | instid1(VALU_DEP_2)
	s_sub_i32 s5, s2, s1
	v_cmp_gt_i32_e64 s1, s11, v55
	v_lshrrev_b32_e32 v42, 8, v41
	v_lshrrev_b32_e32 v43, 16, v41
	;; [unrolled: 1-line block ×3, first 2 shown]
	v_add_nc_u16 v36, v41, v36
	s_and_b32 s2, s1, s0
	v_add_nc_u16 v37, v42, v37
	v_add_nc_u16 v38, v43, v38
	;; [unrolled: 1-line block ×3, first 2 shown]
	v_bfe_i32 v36, v36, 0, 8
	v_add_nc_u32_e32 v44, s5, v40
	v_bfe_i32 v37, v37, 0, 8
	v_bfe_i32 v38, v38, 0, 8
	v_bfe_i32 v39, v39, 0, 8
	v_max_i16 v36, v36, 0
	scratch_load_b128 v[40:43], off, off offset:176
	v_max_i16 v37, v37, 0
	v_max_i16 v38, v38, 0
	;; [unrolled: 1-line block ×3, first 2 shown]
	v_and_b32_e32 v36, 0xffff, v36
	s_and_b32 s1, s1, vcc_lo
	v_and_b32_e32 v37, 0xffff, v37
	v_and_b32_e32 v38, 0xffff, v38
	;; [unrolled: 1-line block ×3, first 2 shown]
	scratch_store_b128 off, v[36:39], off offset:160
	buffer_load_b32 v36, v44, s[40:43], 0 offen
	s_waitcnt vmcnt(0)
	v_cndmask_b32_e64 v45, 0, v36, s2
	scratch_load_b128 v[36:39], off, off offset:160
	v_lshrrev_b32_e32 v46, 8, v45
	v_lshrrev_b32_e32 v47, 16, v45
	;; [unrolled: 1-line block ×3, first 2 shown]
	v_add_nc_u16 v40, v45, v40
	s_delay_alu instid0(VALU_DEP_4) | instskip(NEXT) | instid1(VALU_DEP_4)
	v_add_nc_u16 v41, v46, v41
	v_add_nc_u16 v42, v47, v42
	s_delay_alu instid0(VALU_DEP_4) | instskip(NEXT) | instid1(VALU_DEP_4)
	v_add_nc_u16 v43, v48, v43
	v_bfe_i32 v40, v40, 0, 8
	v_add_nc_u32_e32 v48, s4, v44
	v_bfe_i32 v41, v41, 0, 8
	v_bfe_i32 v42, v42, 0, 8
	;; [unrolled: 1-line block ×3, first 2 shown]
	v_max_i16 v40, v40, 0
	scratch_load_b128 v[44:47], off, off offset:192
	v_max_i16 v41, v41, 0
	v_max_i16 v42, v42, 0
	;; [unrolled: 1-line block ×3, first 2 shown]
	v_and_b32_e32 v40, 0xffff, v40
	s_delay_alu instid0(VALU_DEP_4) | instskip(NEXT) | instid1(VALU_DEP_4)
	v_and_b32_e32 v41, 0xffff, v41
	v_and_b32_e32 v42, 0xffff, v42
	s_delay_alu instid0(VALU_DEP_4)
	v_and_b32_e32 v43, 0xffff, v43
	scratch_store_b128 off, v[40:43], off offset:176
	buffer_load_b32 v40, v48, s[40:43], 0 offen
	s_waitcnt vmcnt(2)
	v_lshlrev_b32_e32 v37, 8, v37
	v_lshlrev_b32_e32 v38, 16, v38
	;; [unrolled: 1-line block ×3, first 2 shown]
	s_delay_alu instid0(VALU_DEP_3) | instskip(NEXT) | instid1(VALU_DEP_3)
	v_perm_b32 v36, v37, v36, 0xc0c0500
	v_and_b32_e32 v37, 0xff0000, v38
	s_waitcnt vmcnt(0)
	v_cndmask_b32_e64 v49, 0, v40, s1
	scratch_load_b128 v[40:43], off, off offset:176
	v_cmp_gt_i32_e64 s1, s11, v68
	v_lshrrev_b32_e32 v50, 8, v49
	v_lshrrev_b32_e32 v51, 16, v49
	;; [unrolled: 1-line block ×3, first 2 shown]
	v_add_nc_u16 v44, v49, v44
	s_and_b32 s2, s1, s0
	v_add_nc_u16 v45, v50, v45
	v_add_nc_u16 v46, v51, v46
	;; [unrolled: 1-line block ×3, first 2 shown]
	v_bfe_i32 v44, v44, 0, 8
	v_add_nc_u32_e32 v56, s5, v48
	v_bfe_i32 v45, v45, 0, 8
	v_bfe_i32 v46, v46, 0, 8
	;; [unrolled: 1-line block ×3, first 2 shown]
	v_max_i16 v44, v44, 0
	scratch_load_b128 v[48:51], off, off offset:208
	v_max_i16 v45, v45, 0
	v_max_i16 v46, v46, 0
	;; [unrolled: 1-line block ×3, first 2 shown]
	v_and_b32_e32 v44, 0xffff, v44
	s_and_b32 s1, s1, vcc_lo
	v_and_b32_e32 v45, 0xffff, v45
	v_and_b32_e32 v46, 0xffff, v46
	v_and_b32_e32 v47, 0xffff, v47
	scratch_store_b128 off, v[44:47], off offset:192
	buffer_load_b32 v44, v56, s[40:43], 0 offen
	s_waitcnt vmcnt(2)
	v_lshlrev_b32_e32 v41, 8, v41
	v_lshlrev_b32_e32 v42, 16, v42
	s_waitcnt vmcnt(0)
	v_cndmask_b32_e64 v57, 0, v44, s2
	scratch_load_b128 v[44:47], off, off offset:192
	v_lshrrev_b32_e32 v58, 8, v57
	v_lshrrev_b32_e32 v59, 16, v57
	;; [unrolled: 1-line block ×3, first 2 shown]
	v_add_nc_u16 v48, v57, v48
	s_delay_alu instid0(VALU_DEP_4) | instskip(NEXT) | instid1(VALU_DEP_4)
	v_add_nc_u16 v49, v58, v49
	v_add_nc_u16 v50, v59, v50
	s_delay_alu instid0(VALU_DEP_4) | instskip(NEXT) | instid1(VALU_DEP_4)
	v_add_nc_u16 v51, v60, v51
	v_bfe_i32 v48, v48, 0, 8
	v_add_nc_u32_e32 v60, s4, v56
	v_bfe_i32 v49, v49, 0, 8
	v_bfe_i32 v50, v50, 0, 8
	;; [unrolled: 1-line block ×3, first 2 shown]
	v_max_i16 v48, v48, 0
	scratch_load_b128 v[56:59], off, off offset:224
	v_max_i16 v49, v49, 0
	v_max_i16 v50, v50, 0
	;; [unrolled: 1-line block ×3, first 2 shown]
	v_and_b32_e32 v48, 0xffff, v48
	s_delay_alu instid0(VALU_DEP_4) | instskip(NEXT) | instid1(VALU_DEP_4)
	v_and_b32_e32 v49, 0xffff, v49
	v_and_b32_e32 v50, 0xffff, v50
	s_delay_alu instid0(VALU_DEP_4)
	v_and_b32_e32 v51, 0xffff, v51
	scratch_store_b128 off, v[48:51], off offset:208
	buffer_load_b32 v48, v60, s[40:43], 0 offen
	s_waitcnt vmcnt(0)
	v_cndmask_b32_e64 v61, 0, v48, s1
	scratch_load_b128 v[48:51], off, off offset:208
	v_cmp_gt_i32_e64 s1, s11, v69
	v_lshrrev_b32_e32 v62, 8, v61
	v_lshrrev_b32_e32 v63, 16, v61
	;; [unrolled: 1-line block ×3, first 2 shown]
	v_add_nc_u16 v56, v61, v56
	s_and_b32 s2, s1, s0
	v_add_nc_u16 v57, v62, v57
	v_add_nc_u16 v58, v63, v58
	;; [unrolled: 1-line block ×3, first 2 shown]
	v_bfe_i32 v56, v56, 0, 8
	v_add_nc_u32_e32 v64, s5, v60
	v_bfe_i32 v57, v57, 0, 8
	v_bfe_i32 v58, v58, 0, 8
	;; [unrolled: 1-line block ×3, first 2 shown]
	v_max_i16 v56, v56, 0
	s_and_b32 s1, s1, vcc_lo
	v_max_i16 v57, v57, 0
	v_max_i16 v58, v58, 0
	;; [unrolled: 1-line block ×3, first 2 shown]
	v_and_b32_e32 v56, 0xffff, v56
	s_delay_alu instid0(VALU_DEP_4) | instskip(NEXT) | instid1(VALU_DEP_4)
	v_and_b32_e32 v57, 0xffff, v57
	v_and_b32_e32 v58, 0xffff, v58
	s_delay_alu instid0(VALU_DEP_4)
	v_and_b32_e32 v59, 0xffff, v59
	scratch_store_b128 off, v[56:59], off offset:224
	buffer_load_b32 v60, v64, s[40:43], 0 offen
	scratch_load_b128 v[56:59], off, off offset:240
	s_waitcnt vmcnt(1)
	v_cndmask_b32_e64 v65, 0, v60, s2
	scratch_load_b128 v[60:63], off, off offset:224
	v_lshrrev_b32_e32 v66, 8, v65
	v_lshrrev_b32_e32 v67, 16, v65
	;; [unrolled: 1-line block ×3, first 2 shown]
	s_waitcnt vmcnt(1)
	v_add_nc_u16 v56, v65, v56
	v_add_nc_u16 v57, v66, v57
	;; [unrolled: 1-line block ×4, first 2 shown]
	s_delay_alu instid0(VALU_DEP_4)
	v_bfe_i32 v56, v56, 0, 8
	v_add_nc_u32_e32 v70, s4, v64
	v_bfe_i32 v57, v57, 0, 8
	v_bfe_i32 v58, v58, 0, 8
	;; [unrolled: 1-line block ×3, first 2 shown]
	v_max_i16 v56, v56, 0
	s_delay_alu instid0(VALU_DEP_4) | instskip(NEXT) | instid1(VALU_DEP_4)
	v_max_i16 v57, v57, 0
	v_max_i16 v58, v58, 0
	s_delay_alu instid0(VALU_DEP_4) | instskip(NEXT) | instid1(VALU_DEP_4)
	v_max_i16 v59, v59, 0
	v_and_b32_e32 v56, 0xffff, v56
	s_delay_alu instid0(VALU_DEP_4) | instskip(NEXT) | instid1(VALU_DEP_4)
	v_and_b32_e32 v57, 0xffff, v57
	v_and_b32_e32 v58, 0xffff, v58
	s_delay_alu instid0(VALU_DEP_4)
	v_and_b32_e32 v59, 0xffff, v59
	scratch_store_b128 off, v[56:59], off offset:240
	buffer_load_b32 v64, v70, s[40:43], 0 offen
	scratch_load_b128 v[56:59], off, off offset:256
	s_waitcnt vmcnt(1)
	v_cndmask_b32_e64 v71, 0, v64, s1
	scratch_load_b128 v[64:67], off, off offset:240
	s_mul_i32 s1, s34, 60
	s_delay_alu instid0(SALU_CYCLE_1)
	v_add3_u32 v70, s5, s1, v70
	v_lshrrev_b32_e32 v72, 8, v71
	v_lshrrev_b32_e32 v73, 16, v71
	;; [unrolled: 1-line block ×3, first 2 shown]
	s_waitcnt vmcnt(1)
	v_add_nc_u16 v56, v71, v56
	v_add_nc_u32_e32 v71, 64, v53
	v_add_nc_u16 v57, v72, v57
	v_add_nc_u16 v58, v73, v58
	;; [unrolled: 1-line block ×3, first 2 shown]
	v_bfe_i32 v56, v56, 0, 8
	v_cmp_gt_i32_e64 s1, s11, v71
	v_bfe_i32 v57, v57, 0, 8
	v_bfe_i32 v58, v58, 0, 8
	;; [unrolled: 1-line block ×3, first 2 shown]
	v_max_i16 v56, v56, 0
	s_and_b32 s2, s1, s0
	v_max_i16 v57, v57, 0
	v_max_i16 v58, v58, 0
	;; [unrolled: 1-line block ×3, first 2 shown]
	v_and_b32_e32 v56, 0xffff, v56
	s_and_b32 s1, s1, vcc_lo
	v_and_b32_e32 v57, 0xffff, v57
	v_and_b32_e32 v58, 0xffff, v58
	;; [unrolled: 1-line block ×3, first 2 shown]
	v_add_nc_u32_e32 v72, 0x42, v53
	v_add_nc_u32_e32 v73, 0x43, v53
	scratch_store_b128 off, v[56:59], off offset:256
	buffer_load_b32 v56, v70, s[40:43], 0 offen
	v_cmp_gt_i32_e64 s7, s18, v72
	v_cmp_ge_i32_e64 s8, s18, v72
	v_cmp_ge_i32_e64 s6, s18, v73
	s_waitcnt vmcnt(0)
	v_cndmask_b32_e64 v56, 0, v56, s2
	s_delay_alu instid0(VALU_DEP_1)
	v_lshrrev_b32_e32 v57, 8, v56
	v_lshrrev_b32_e32 v58, 16, v56
	;; [unrolled: 1-line block ×3, first 2 shown]
	v_add_nc_u16 v32, v56, v32
	v_add_nc_u32_e32 v56, s4, v70
	v_add_nc_u16 v33, v57, v33
	v_add_nc_u16 v34, v58, v34
	;; [unrolled: 1-line block ×3, first 2 shown]
	v_bfe_i32 v32, v32, 0, 8
	v_add_nc_u32_e32 v70, 0x41, v53
	v_bfe_i32 v33, v33, 0, 8
	v_bfe_i32 v34, v34, 0, 8
	;; [unrolled: 1-line block ×3, first 2 shown]
	v_max_i16 v32, v32, 0
	v_cmp_gt_i32_e64 s9, s18, v70
	v_max_i16 v33, v33, 0
	v_max_i16 v34, v34, 0
	;; [unrolled: 1-line block ×3, first 2 shown]
	v_and_b32_e32 v32, 0xffff, v32
	v_cmp_ge_i32_e64 s10, s18, v70
	v_and_b32_e32 v33, 0xffff, v33
	v_and_b32_e32 v34, 0xffff, v34
	;; [unrolled: 1-line block ×3, first 2 shown]
	scratch_store_b128 off, v[32:35], off offset:272
	buffer_load_b32 v32, v56, s[40:43], 0 offen
	s_waitcnt vmcnt(0)
	v_cndmask_b32_e64 v32, 0, v32, s1
	v_cmp_gt_i32_e64 s1, s11, v70
	s_delay_alu instid0(VALU_DEP_2)
	v_lshrrev_b32_e32 v33, 8, v32
	v_lshrrev_b32_e32 v34, 16, v32
	;; [unrolled: 1-line block ×3, first 2 shown]
	v_add_nc_u16 v28, v32, v28
	v_add_nc_u32_e32 v32, s5, v56
	v_add_nc_u16 v29, v33, v29
	v_add_nc_u16 v30, v34, v30
	;; [unrolled: 1-line block ×3, first 2 shown]
	v_bfe_i32 v28, v28, 0, 8
	s_and_b32 s2, s1, s0
	v_bfe_i32 v29, v29, 0, 8
	v_bfe_i32 v30, v30, 0, 8
	;; [unrolled: 1-line block ×3, first 2 shown]
	v_max_i16 v28, v28, 0
	s_and_b32 s1, s1, vcc_lo
	v_max_i16 v29, v29, 0
	v_max_i16 v30, v30, 0
	;; [unrolled: 1-line block ×3, first 2 shown]
	v_and_b32_e32 v28, 0xffff, v28
	s_delay_alu instid0(VALU_DEP_4) | instskip(NEXT) | instid1(VALU_DEP_4)
	v_and_b32_e32 v29, 0xffff, v29
	v_and_b32_e32 v30, 0xffff, v30
	s_delay_alu instid0(VALU_DEP_4) | instskip(SKIP_4) | instid1(VALU_DEP_1)
	v_and_b32_e32 v31, 0xffff, v31
	scratch_store_b128 off, v[28:31], off offset:288
	buffer_load_b32 v28, v32, s[40:43], 0 offen
	s_waitcnt vmcnt(0)
	v_cndmask_b32_e64 v28, 0, v28, s2
	v_lshrrev_b32_e32 v29, 8, v28
	v_lshrrev_b32_e32 v30, 16, v28
	v_lshrrev_b32_e32 v31, 24, v28
	v_add_nc_u16 v24, v28, v24
	v_add_nc_u32_e32 v28, s4, v32
	v_add_nc_u16 v25, v29, v25
	v_add_nc_u16 v26, v30, v26
	;; [unrolled: 1-line block ×3, first 2 shown]
	v_bfe_i32 v24, v24, 0, 8
	s_delay_alu instid0(VALU_DEP_4) | instskip(NEXT) | instid1(VALU_DEP_4)
	v_bfe_i32 v25, v25, 0, 8
	v_bfe_i32 v26, v26, 0, 8
	s_delay_alu instid0(VALU_DEP_4) | instskip(NEXT) | instid1(VALU_DEP_4)
	v_bfe_i32 v27, v27, 0, 8
	v_max_i16 v24, v24, 0
	s_delay_alu instid0(VALU_DEP_4) | instskip(NEXT) | instid1(VALU_DEP_4)
	v_max_i16 v25, v25, 0
	v_max_i16 v26, v26, 0
	s_delay_alu instid0(VALU_DEP_4) | instskip(NEXT) | instid1(VALU_DEP_4)
	v_max_i16 v27, v27, 0
	v_and_b32_e32 v24, 0xffff, v24
	s_delay_alu instid0(VALU_DEP_4) | instskip(NEXT) | instid1(VALU_DEP_4)
	v_and_b32_e32 v25, 0xffff, v25
	v_and_b32_e32 v26, 0xffff, v26
	s_delay_alu instid0(VALU_DEP_4)
	v_and_b32_e32 v27, 0xffff, v27
	scratch_store_b128 off, v[24:27], off offset:304
	buffer_load_b32 v24, v28, s[40:43], 0 offen
	s_waitcnt vmcnt(0)
	v_cndmask_b32_e64 v24, 0, v24, s1
	v_cmp_gt_i32_e64 s1, s11, v72
	s_delay_alu instid0(VALU_DEP_2)
	v_lshrrev_b32_e32 v25, 8, v24
	v_lshrrev_b32_e32 v26, 16, v24
	;; [unrolled: 1-line block ×3, first 2 shown]
	v_add_nc_u16 v20, v24, v20
	v_add_nc_u32_e32 v24, s5, v28
	v_add_nc_u16 v21, v25, v21
	v_add_nc_u16 v22, v26, v22
	;; [unrolled: 1-line block ×3, first 2 shown]
	v_bfe_i32 v20, v20, 0, 8
	s_and_b32 s2, s1, s0
	v_bfe_i32 v21, v21, 0, 8
	v_bfe_i32 v22, v22, 0, 8
	;; [unrolled: 1-line block ×3, first 2 shown]
	v_max_i16 v20, v20, 0
	s_and_b32 s1, s1, vcc_lo
	v_max_i16 v21, v21, 0
	v_max_i16 v22, v22, 0
	;; [unrolled: 1-line block ×3, first 2 shown]
	v_and_b32_e32 v20, 0xffff, v20
	s_delay_alu instid0(VALU_DEP_4) | instskip(NEXT) | instid1(VALU_DEP_4)
	v_and_b32_e32 v21, 0xffff, v21
	v_and_b32_e32 v22, 0xffff, v22
	s_delay_alu instid0(VALU_DEP_4)
	v_and_b32_e32 v23, 0xffff, v23
	scratch_store_b128 off, v[20:23], off offset:320
	buffer_load_b32 v20, v24, s[40:43], 0 offen
	s_waitcnt vmcnt(0)
	v_cndmask_b32_e64 v20, 0, v20, s2
	v_cmp_gt_i32_e64 s2, s18, v55
	s_delay_alu instid0(VALU_DEP_2)
	v_lshrrev_b32_e32 v21, 8, v20
	v_lshrrev_b32_e32 v22, 16, v20
	;; [unrolled: 1-line block ×3, first 2 shown]
	v_add_nc_u16 v16, v20, v16
	v_add_nc_u32_e32 v20, s4, v24
	v_add_nc_u16 v17, v21, v17
	v_add_nc_u16 v18, v22, v18
	;; [unrolled: 1-line block ×3, first 2 shown]
	v_bfe_i32 v16, v16, 0, 8
	s_delay_alu instid0(VALU_DEP_4) | instskip(NEXT) | instid1(VALU_DEP_4)
	v_bfe_i32 v17, v17, 0, 8
	v_bfe_i32 v18, v18, 0, 8
	s_delay_alu instid0(VALU_DEP_4) | instskip(NEXT) | instid1(VALU_DEP_4)
	v_bfe_i32 v19, v19, 0, 8
	v_max_i16 v16, v16, 0
	s_delay_alu instid0(VALU_DEP_4) | instskip(NEXT) | instid1(VALU_DEP_4)
	v_max_i16 v17, v17, 0
	v_max_i16 v18, v18, 0
	s_delay_alu instid0(VALU_DEP_4) | instskip(NEXT) | instid1(VALU_DEP_4)
	v_max_i16 v19, v19, 0
	v_and_b32_e32 v16, 0xffff, v16
	s_delay_alu instid0(VALU_DEP_4) | instskip(NEXT) | instid1(VALU_DEP_4)
	v_and_b32_e32 v17, 0xffff, v17
	v_and_b32_e32 v18, 0xffff, v18
	s_delay_alu instid0(VALU_DEP_4)
	v_and_b32_e32 v19, 0xffff, v19
	scratch_store_b128 off, v[16:19], off offset:336
	buffer_load_b32 v16, v20, s[40:43], 0 offen
	s_waitcnt vmcnt(0)
	v_cndmask_b32_e64 v16, 0, v16, s1
	v_cmp_gt_i32_e64 s1, s11, v73
	v_cmp_gt_i32_e64 s11, s18, v71
	s_delay_alu instid0(VALU_DEP_3)
	v_lshrrev_b32_e32 v17, 8, v16
	v_lshrrev_b32_e32 v18, 16, v16
	;; [unrolled: 1-line block ×3, first 2 shown]
	v_add_nc_u16 v12, v16, v12
	v_add_nc_u32_e32 v16, s5, v20
	v_add_nc_u16 v13, v17, v13
	v_add_nc_u16 v14, v18, v14
	;; [unrolled: 1-line block ×3, first 2 shown]
	v_bfe_i32 v12, v12, 0, 8
	s_and_b32 s0, s1, s0
	v_bfe_i32 v13, v13, 0, 8
	v_bfe_i32 v14, v14, 0, 8
	;; [unrolled: 1-line block ×3, first 2 shown]
	v_max_i16 v12, v12, 0
	s_and_b32 vcc_lo, s1, vcc_lo
	v_max_i16 v13, v13, 0
	v_max_i16 v14, v14, 0
	v_max_i16 v15, v15, 0
	v_and_b32_e32 v12, 0xffff, v12
	v_cmp_gt_i32_e64 s5, s18, v73
	v_and_b32_e32 v13, 0xffff, v13
	v_and_b32_e32 v14, 0xffff, v14
	;; [unrolled: 1-line block ×3, first 2 shown]
	scratch_store_b128 off, v[12:15], off offset:352
	buffer_load_b32 v12, v16, s[40:43], 0 offen
	s_waitcnt vmcnt(0)
	v_cndmask_b32_e64 v12, 0, v12, s0
	v_cmp_gt_i32_e64 s0, s18, v53
	v_mul_lo_u32 v53, v53, s16
	s_delay_alu instid0(VALU_DEP_3)
	v_lshrrev_b32_e32 v13, 8, v12
	v_lshrrev_b32_e32 v14, 16, v12
	;; [unrolled: 1-line block ×3, first 2 shown]
	v_add_nc_u16 v8, v12, v8
	v_add_nc_u32_e32 v12, s4, v16
	v_add_nc_u16 v9, v13, v9
	v_add_nc_u16 v10, v14, v10
	;; [unrolled: 1-line block ×3, first 2 shown]
	v_bfe_i32 v8, v8, 0, 8
	v_cmp_gt_i32_e64 s4, s18, v69
	v_bfe_i32 v9, v9, 0, 8
	v_bfe_i32 v10, v10, 0, 8
	v_bfe_i32 v11, v11, 0, 8
	v_max_i16 v8, v8, 0
	s_delay_alu instid0(VALU_DEP_4) | instskip(NEXT) | instid1(VALU_DEP_4)
	v_max_i16 v9, v9, 0
	v_max_i16 v10, v10, 0
	s_delay_alu instid0(VALU_DEP_4) | instskip(NEXT) | instid1(VALU_DEP_4)
	v_max_i16 v11, v11, 0
	v_and_b32_e32 v8, 0xffff, v8
	s_delay_alu instid0(VALU_DEP_4) | instskip(NEXT) | instid1(VALU_DEP_4)
	v_and_b32_e32 v9, 0xffff, v9
	v_and_b32_e32 v10, 0xffff, v10
	s_delay_alu instid0(VALU_DEP_4)
	v_and_b32_e32 v11, 0xffff, v11
	scratch_store_b128 off, v[8:11], off offset:368
	buffer_load_b32 v20, v12, s[40:43], 0 offen
	s_clause 0x2
	scratch_load_b128 v[8:11], off, off offset:256
	scratch_load_b128 v[12:15], off, off offset:272
	;; [unrolled: 1-line block ×3, first 2 shown]
	s_waitcnt vmcnt(2)
	v_dual_cndmask_b32 v24, 0, v20 :: v_dual_lshlrev_b32 v9, 8, v9
	scratch_load_b128 v[20:23], off, off offset:288
	v_cmp_gt_i32_e32 vcc_lo, s3, v52
	v_lshlrev_b32_e32 v10, 16, v10
	v_lshlrev_b32_e32 v11, 24, v11
	v_lshrrev_b32_e32 v25, 8, v24
	v_lshrrev_b32_e32 v28, 16, v24
	;; [unrolled: 1-line block ×3, first 2 shown]
	v_add_nc_u16 v4, v24, v4
	s_and_b32 s1, s0, vcc_lo
	v_add_nc_u16 v5, v25, v5
	v_add_nc_u16 v6, v28, v6
	scratch_load_b128 v[28:31], off, off offset:320
	v_add_nc_u16 v7, v32, v7
	v_bfe_i32 v4, v4, 0, 8
	v_bfe_i32 v5, v5, 0, 8
	;; [unrolled: 1-line block ×3, first 2 shown]
	scratch_load_b128 v[24:27], off, off offset:336
	v_bfe_i32 v32, v7, 0, 8
	v_max_i16 v56, v4, 0
	v_max_i16 v57, v5, 0
	;; [unrolled: 1-line block ×3, first 2 shown]
	scratch_load_b128 v[4:7], off, off offset:368
	v_max_i16 v59, v32, 0
	v_and_b32_e32 v56, 0xffff, v56
	v_and_b32_e32 v57, 0xffff, v57
	v_and_b32_e32 v58, 0xffff, v58
	scratch_load_b128 v[32:35], off, off offset:352
	v_and_b32_e32 v59, 0xffff, v59
	v_cndmask_b32_e64 v74, 0x80000000, 0, s1
	v_cmp_gt_i32_e64 s1, s3, v2
	v_cmp_gt_i32_e64 s3, s18, v68
	v_mad_u64_u32 v[68:69], null, v52, s17, v[53:54]
	scratch_store_b128 off, v[56:59], off offset:384
	scratch_load_b128 v[56:59], off, off offset:384
	s_and_b32 s0, s0, s1
	v_perm_b32 v8, v9, v8, 0xc0c0500
	v_cndmask_b32_e64 v2, 0x80000000, 0, s0
	s_and_b32 s0, s2, s1
	v_add_nc_u32_e32 v52, s19, v68
	v_and_b32_e32 v9, 0xff0000, v10
	s_waitcnt vmcnt(7)
	v_lshlrev_b32_e32 v13, 8, v13
	v_lshlrev_b32_e32 v14, 16, v14
	v_cndmask_b32_e64 v53, 0x80000000, 0, s0
	v_add_nc_u32_e32 v69, s16, v52
	s_and_b32 s0, s2, vcc_lo
	v_lshlrev_b32_e32 v54, 16, v54
	v_cndmask_b32_e64 v55, 0x80000000, 0, s0
	s_and_b32 s0, s3, vcc_lo
	v_add_nc_u32_e32 v72, s16, v69
	v_cndmask_b32_e64 v70, 0x80000000, 0, s0
	s_and_b32 s0, s3, s1
	v_or3_b32 v8, v8, v9, v11
	v_perm_b32 v11, v13, v12, 0xc0c0500
	v_add_nc_u32_e32 v76, s16, v72
	v_and_b32_e32 v12, 0xff0000, v14
	s_waitcnt vmcnt(6)
	v_lshlrev_b32_e32 v13, 8, v17
	v_lshlrev_b32_e32 v14, 16, v18
	v_cndmask_b32_e64 v71, 0x80000000, 0, s0
	v_subrev_nc_u32_e32 v79, s19, v76
	s_and_b32 s0, s4, s1
	v_lshl_or_b32 v1, v1, 8, v54
	v_cndmask_b32_e64 v73, 0x80000000, 0, s0
	s_and_b32 s0, s4, vcc_lo
	v_lshl_add_u32 v82, s21, 6, v79
	v_lshlrev_b32_e32 v9, 24, v15
	v_lshlrev_b32_e32 v15, 24, v19
	v_perm_b32 v13, v13, v16, 0xc0c0500
	v_and_b32_e32 v14, 0xff0000, v14
	v_subrev_nc_u32_e32 v85, s16, v82
	v_cndmask_b32_e64 v75, 0x80000000, 0, s0
	s_and_b32 s0, s5, vcc_lo
	v_or3_b32 v0, v3, v1, v0
	v_or3_b32 v1, v36, v37, v39
	v_lshlrev_b32_e32 v3, 24, v43
	v_perm_b32 v36, v41, v40, 0xc0c0500
	v_and_b32_e32 v37, 0xff0000, v42
	v_lshlrev_b32_e32 v39, 8, v45
	v_lshlrev_b32_e32 v40, 16, v46
	;; [unrolled: 1-line block ×4, first 2 shown]
	v_cndmask_b32_e64 v77, 0x80000000, 0, s0
	s_and_b32 s0, s5, s1
	v_add_nc_u32_e32 v88, s16, v68
	v_cndmask_b32_e64 v78, 0x80000000, 0, s0
	s_and_b32 s0, s6, s1
	v_subrev_nc_u32_e32 v89, s19, v85
	v_or3_b32 v13, v13, v14, v15
	v_cndmask_b32_e64 v80, 0x80000000, 0, s0
	s_and_b32 s0, s7, vcc_lo
	v_lshlrev_b32_e32 v41, 24, v47
	v_perm_b32 v39, v39, v44, 0xc0c0500
	v_and_b32_e32 v40, 0xff0000, v40
	v_lshlrev_b32_e32 v44, 24, v51
	v_perm_b32 v42, v42, v48, 0xc0c0500
	v_and_b32_e32 v43, 0xff0000, v43
	v_cndmask_b32_e64 v81, 0x80000000, 0, s0
	s_and_b32 s0, s8, vcc_lo
	v_add_nc_u32_e32 v2, v2, v52
	v_add_nc_u32_e32 v52, v88, v55
	v_subrev_nc_u32_e32 v55, s16, v89
	v_or3_b32 v3, v36, v37, v3
	v_lshlrev_b32_e32 v36, 8, v61
	v_lshlrev_b32_e32 v37, 16, v62
	v_or3_b32 v9, v11, v12, v9
	v_cndmask_b32_e64 v83, 0x80000000, 0, s0
	s_and_b32 s0, s9, s1
	v_or3_b32 v39, v39, v40, v41
	v_or3_b32 v40, v42, v43, v44
	v_lshlrev_b32_e32 v42, 8, v65
	v_lshlrev_b32_e32 v43, 16, v66
	v_cndmask_b32_e64 v84, 0x80000000, 0, s0
	s_and_b32 s0, s11, vcc_lo
	v_add_nc_u32_e32 v68, v74, v68
	v_cndmask_b32_e64 v86, 0x80000000, 0, s0
	v_add_nc_u32_e32 v53, v53, v69
	v_add_nc_u32_e32 v69, v72, v71
	;; [unrolled: 1-line block ×3, first 2 shown]
	v_lshlrev_b32_e32 v41, 24, v63
	v_perm_b32 v36, v36, v60, 0xc0c0500
	v_and_b32_e32 v37, 0xff0000, v37
	v_lshlrev_b32_e32 v44, 24, v67
	v_perm_b32 v42, v42, v64, 0xc0c0500
	v_and_b32_e32 v43, 0xff0000, v43
	s_and_b32 s0, s10, s1
	buffer_store_b32 v0, v68, s[12:15], 0 offen
	v_cndmask_b32_e64 v87, 0x80000000, 0, s0
	v_subrev_nc_u32_e32 v86, s19, v86
	v_add3_u32 v74, v77, s20, v79
	v_subrev_nc_u32_e32 v77, s16, v72
	v_or3_b32 v10, v36, v37, v41
	v_add_nc_u32_e32 v71, v76, v73
	v_add_nc_u32_e32 v73, v79, v75
	v_or3_b32 v36, v42, v43, v44
	v_add3_u32 v70, v70, s16, v88
	v_add_nc_u32_e32 v75, v82, v78
	v_add_nc_u32_e32 v76, v85, v80
	;; [unrolled: 1-line block ×7, first 2 shown]
	s_clause 0x3
	buffer_store_b32 v1, v2, s[12:15], 0 offen
	buffer_store_b32 v39, v53, s[12:15], 0 offen
	;; [unrolled: 1-line block ×4, first 2 shown]
	s_waitcnt vmcnt(5)
	v_lshlrev_b32_e32 v17, 8, v21
	v_lshlrev_b32_e32 v18, 16, v22
	;; [unrolled: 1-line block ×3, first 2 shown]
	s_delay_alu instid0(VALU_DEP_3) | instskip(NEXT) | instid1(VALU_DEP_3)
	v_perm_b32 v12, v17, v20, 0xc0c0500
	v_and_b32_e32 v16, 0xff0000, v18
	s_waitcnt vmcnt(4)
	v_lshlrev_b32_e32 v18, 8, v29
	v_lshlrev_b32_e32 v19, 16, v30
	s_delay_alu instid0(VALU_DEP_3)
	v_or3_b32 v11, v12, v16, v11
	v_lshlrev_b32_e32 v12, 24, v31
	s_waitcnt vmcnt(3)
	v_lshlrev_b32_e32 v14, 8, v25
	v_lshlrev_b32_e32 v15, 16, v26
	;; [unrolled: 1-line block ×3, first 2 shown]
	v_perm_b32 v16, v18, v28, 0xc0c0500
	v_and_b32_e32 v18, 0xff0000, v19
	s_waitcnt vmcnt(2)
	v_lshlrev_b32_e32 v5, 8, v5
	v_lshlrev_b32_e32 v6, 16, v6
	;; [unrolled: 1-line block ×3, first 2 shown]
	v_perm_b32 v14, v14, v24, 0xc0c0500
	v_and_b32_e32 v15, 0xff0000, v15
	v_perm_b32 v4, v5, v4, 0xc0c0500
	v_and_b32_e32 v5, 0xff0000, v6
	s_waitcnt vmcnt(1)
	v_lshlrev_b32_e32 v6, 24, v35
	v_or3_b32 v12, v16, v18, v12
	v_or3_b32 v14, v14, v15, v17
	v_lshlrev_b32_e32 v15, 8, v33
	v_or3_b32 v4, v4, v5, v7
	v_lshlrev_b32_e32 v17, 16, v34
	s_waitcnt vmcnt(0)
	v_lshlrev_b32_e32 v5, 8, v57
	v_lshlrev_b32_e32 v7, 16, v58
	;; [unrolled: 1-line block ×3, first 2 shown]
	v_perm_b32 v15, v15, v32, 0xc0c0500
	v_and_b32_e32 v17, 0xff0000, v17
	v_perm_b32 v5, v5, v56, 0xc0c0500
	v_and_b32_e32 v7, 0xff0000, v7
	s_delay_alu instid0(VALU_DEP_3) | instskip(NEXT) | instid1(VALU_DEP_2)
	v_or3_b32 v6, v15, v17, v6
	v_or3_b32 v0, v5, v7, v0
	s_clause 0xa
	buffer_store_b32 v10, v69, s[12:15], 0 offen
	buffer_store_b32 v8, v71, s[12:15], 0 offen
	;; [unrolled: 1-line block ×11, first 2 shown]
	s_endpgm
	.section	.rodata,"a",@progbits
	.p2align	6, 0x0
	.amdhsa_kernel _ZN2ck16tensor_operation6device12_GLOBAL__N_137kernel_grouped_conv_fwd_dl_multiple_dINS_32GridwiseGemmDlMultipleD_km_kn_mnILi256EaiNS_5TupleIJaEEEaNS0_12element_wise11PassThroughES8_NS7_7AddReluELNS_25InMemoryDataOperationEnumE0ENS_16TensorDescriptorINS5_IJNS_5EmbedINS5_IJiiiiiEEESD_Lb0EEENS_11PassThroughIiEENS_3PadIiiiLb0EEESI_SI_SG_SG_NSC_INS5_IJiiEEESJ_Lb0EEESK_SK_SG_NS_23Merge_v2_magic_divisionINS5_IJiiiiEEEEESN_NS_8RightPadIiiLb0EEESP_NS_7UnMergeISJ_Lb0EEESG_EEENS5_IJNS_8SequenceIJLi0EEEENST_IJLi1EEEENST_IJLi2EEEENST_IJLi3EEEENST_IJLi4EEEENST_IJLi5EEEENST_IJLi6EEEENST_IJLi7EEEENST_IJLi8EEEENST_IJLi9EEEENST_IJLi10EEEENST_IJLi11ELi13ELi15ELi17EEEENST_IJLi12ELi14ELi16ELi18EEEENST_IJLi19EEEENST_IJLi20EEEENST_IJLi22EEEENST_IJLi21EEEEEEENS5_IJNST_IJLi1ELi2ELi3ELi4ELi5EEEES10_S11_S12_S13_S14_NST_IJLi11EEEENST_IJLi12ELi13EEEENST_IJLi14ELi15EEEENST_IJLi16ELi17EEEENST_IJLi18EEEES17_S18_S1A_S19_NST_IJLi23ELi24EEEENST_IJLi25EEEEEEENST_IJLi23ELi25ELi24EEEElEENSB_INS5_IJSR_SP_SP_SR_SG_EEENS5_IJSU_SV_SW_SY_SX_EEENS5_IJNST_IJLi1ELi2EEEESX_SY_NST_IJLi5ELi6EEEES11_EEENST_IJLi5ELi7ELi6EEEElEENSB_INS5_IJSK_SP_SP_EEENS5_IJSU_SV_SW_EEENS5_IJS1P_SX_SY_EEENST_IJLi3ELi4EEEElEELi128ELi128ELi16ELi4ELi4ELi4ELi1ENST_IJLi8ELi2EEEES1Z_NST_IJLi8ELi1ELi1ELi4EEEENST_IJLi2ELi1ELi128ELi1EEEENST_IJLi1ELi2ELi0ELi3EEEES22_NST_IJLi4ELi1ELi1ELi4EEEES22_NST_IJLi1ELi1ELi1ELi4EEEES20_S21_S22_S22_S23_S22_S24_NST_IJLi0ELi1ELi2ELi3ELi4ELi5EEEELi5ELi4EEEaNS5_IJPKaEEEaS8_S8_S9_NSB_INS5_IJSE_SG_SI_SI_SI_SG_SG_SK_SK_SK_SG_SN_SN_SP_SP_SR_SG_SG_NSQ_INS5_IJiNS_17integral_constantIiLi128EEEEEELb0EEENSF_INS2A_IiLi4EEEEEEEENS5_IJSU_SV_SW_SX_SY_SZ_S10_S11_S12_S13_S14_S15_S16_S17_S18_S19_S1A_NST_IJLi23EEEES1J_NST_IJLi24EEEEEEENS5_IJS1C_S10_S11_S12_S13_S14_S1D_S1E_S1F_S1G_S1H_S17_S18_S1A_S19_S1I_S1J_NST_IJLi26EEEENST_IJLi27ELi28EEEENST_IJLi29EEEEEEENST_IJLi26ELi27ELi28ELi29EEEElEENSB_INS5_IJSR_SP_SP_SR_SG_SG_S2D_S2F_EEENS5_IJSU_SV_SW_SY_SX_SZ_S11_S10_EEENS5_IJS1P_SX_SY_S1Q_S11_S12_NST_IJLi9ELi10EEEES1D_EEENST_IJLi8ELi9ELi10ELi11EEEElEENS5_IJNSB_INS5_IJSK_SP_SP_NSQ_INS5_IJiNS2A_IiLi2EEENS2A_IiLi64EEEEEELb0EEES2Z_EEENS5_IJSU_SV_SW_SX_SY_EEENS5_IJS1P_SX_SY_NST_IJLi5ELi6ELi7EEEENST_IJLi8ELi9ELi10EEEEEEENST_IJLi5ELi6ELi7ELi8ELi9ELi10EEEElEEEEES36_NS_31BlockToCTileMap_M00_N00_M01_N01ILi128ELi128ES1Y_Lb0EEENS1_30ComputePtrOffsetOfStridedBatchILi1ELi1ELi1EvEELb0ELb0EEEvPKT0_S3E_T1_PT2_T3_T4_T5_iT6_T7_T8_T9_T10_T11_
		.amdhsa_group_segment_fixed_size 32768
		.amdhsa_private_segment_fixed_size 448
		.amdhsa_kernarg_size 1024
		.amdhsa_user_sgpr_count 15
		.amdhsa_user_sgpr_dispatch_ptr 0
		.amdhsa_user_sgpr_queue_ptr 0
		.amdhsa_user_sgpr_kernarg_segment_ptr 1
		.amdhsa_user_sgpr_dispatch_id 0
		.amdhsa_user_sgpr_private_segment_size 0
		.amdhsa_wavefront_size32 1
		.amdhsa_uses_dynamic_stack 0
		.amdhsa_enable_private_segment 1
		.amdhsa_system_sgpr_workgroup_id_x 1
		.amdhsa_system_sgpr_workgroup_id_y 0
		.amdhsa_system_sgpr_workgroup_id_z 0
		.amdhsa_system_sgpr_workgroup_info 0
		.amdhsa_system_vgpr_workitem_id 0
		.amdhsa_next_free_vgpr 90
		.amdhsa_next_free_sgpr 90
		.amdhsa_reserve_vcc 1
		.amdhsa_float_round_mode_32 0
		.amdhsa_float_round_mode_16_64 0
		.amdhsa_float_denorm_mode_32 3
		.amdhsa_float_denorm_mode_16_64 3
		.amdhsa_dx10_clamp 1
		.amdhsa_ieee_mode 1
		.amdhsa_fp16_overflow 0
		.amdhsa_workgroup_processor_mode 1
		.amdhsa_memory_ordered 1
		.amdhsa_forward_progress 0
		.amdhsa_shared_vgpr_count 0
		.amdhsa_exception_fp_ieee_invalid_op 0
		.amdhsa_exception_fp_denorm_src 0
		.amdhsa_exception_fp_ieee_div_zero 0
		.amdhsa_exception_fp_ieee_overflow 0
		.amdhsa_exception_fp_ieee_underflow 0
		.amdhsa_exception_fp_ieee_inexact 0
		.amdhsa_exception_int_div_zero 0
	.end_amdhsa_kernel
	.section	.text._ZN2ck16tensor_operation6device12_GLOBAL__N_137kernel_grouped_conv_fwd_dl_multiple_dINS_32GridwiseGemmDlMultipleD_km_kn_mnILi256EaiNS_5TupleIJaEEEaNS0_12element_wise11PassThroughES8_NS7_7AddReluELNS_25InMemoryDataOperationEnumE0ENS_16TensorDescriptorINS5_IJNS_5EmbedINS5_IJiiiiiEEESD_Lb0EEENS_11PassThroughIiEENS_3PadIiiiLb0EEESI_SI_SG_SG_NSC_INS5_IJiiEEESJ_Lb0EEESK_SK_SG_NS_23Merge_v2_magic_divisionINS5_IJiiiiEEEEESN_NS_8RightPadIiiLb0EEESP_NS_7UnMergeISJ_Lb0EEESG_EEENS5_IJNS_8SequenceIJLi0EEEENST_IJLi1EEEENST_IJLi2EEEENST_IJLi3EEEENST_IJLi4EEEENST_IJLi5EEEENST_IJLi6EEEENST_IJLi7EEEENST_IJLi8EEEENST_IJLi9EEEENST_IJLi10EEEENST_IJLi11ELi13ELi15ELi17EEEENST_IJLi12ELi14ELi16ELi18EEEENST_IJLi19EEEENST_IJLi20EEEENST_IJLi22EEEENST_IJLi21EEEEEEENS5_IJNST_IJLi1ELi2ELi3ELi4ELi5EEEES10_S11_S12_S13_S14_NST_IJLi11EEEENST_IJLi12ELi13EEEENST_IJLi14ELi15EEEENST_IJLi16ELi17EEEENST_IJLi18EEEES17_S18_S1A_S19_NST_IJLi23ELi24EEEENST_IJLi25EEEEEEENST_IJLi23ELi25ELi24EEEElEENSB_INS5_IJSR_SP_SP_SR_SG_EEENS5_IJSU_SV_SW_SY_SX_EEENS5_IJNST_IJLi1ELi2EEEESX_SY_NST_IJLi5ELi6EEEES11_EEENST_IJLi5ELi7ELi6EEEElEENSB_INS5_IJSK_SP_SP_EEENS5_IJSU_SV_SW_EEENS5_IJS1P_SX_SY_EEENST_IJLi3ELi4EEEElEELi128ELi128ELi16ELi4ELi4ELi4ELi1ENST_IJLi8ELi2EEEES1Z_NST_IJLi8ELi1ELi1ELi4EEEENST_IJLi2ELi1ELi128ELi1EEEENST_IJLi1ELi2ELi0ELi3EEEES22_NST_IJLi4ELi1ELi1ELi4EEEES22_NST_IJLi1ELi1ELi1ELi4EEEES20_S21_S22_S22_S23_S22_S24_NST_IJLi0ELi1ELi2ELi3ELi4ELi5EEEELi5ELi4EEEaNS5_IJPKaEEEaS8_S8_S9_NSB_INS5_IJSE_SG_SI_SI_SI_SG_SG_SK_SK_SK_SG_SN_SN_SP_SP_SR_SG_SG_NSQ_INS5_IJiNS_17integral_constantIiLi128EEEEEELb0EEENSF_INS2A_IiLi4EEEEEEEENS5_IJSU_SV_SW_SX_SY_SZ_S10_S11_S12_S13_S14_S15_S16_S17_S18_S19_S1A_NST_IJLi23EEEES1J_NST_IJLi24EEEEEEENS5_IJS1C_S10_S11_S12_S13_S14_S1D_S1E_S1F_S1G_S1H_S17_S18_S1A_S19_S1I_S1J_NST_IJLi26EEEENST_IJLi27ELi28EEEENST_IJLi29EEEEEEENST_IJLi26ELi27ELi28ELi29EEEElEENSB_INS5_IJSR_SP_SP_SR_SG_SG_S2D_S2F_EEENS5_IJSU_SV_SW_SY_SX_SZ_S11_S10_EEENS5_IJS1P_SX_SY_S1Q_S11_S12_NST_IJLi9ELi10EEEES1D_EEENST_IJLi8ELi9ELi10ELi11EEEElEENS5_IJNSB_INS5_IJSK_SP_SP_NSQ_INS5_IJiNS2A_IiLi2EEENS2A_IiLi64EEEEEELb0EEES2Z_EEENS5_IJSU_SV_SW_SX_SY_EEENS5_IJS1P_SX_SY_NST_IJLi5ELi6ELi7EEEENST_IJLi8ELi9ELi10EEEEEEENST_IJLi5ELi6ELi7ELi8ELi9ELi10EEEElEEEEES36_NS_31BlockToCTileMap_M00_N00_M01_N01ILi128ELi128ES1Y_Lb0EEENS1_30ComputePtrOffsetOfStridedBatchILi1ELi1ELi1EvEELb0ELb0EEEvPKT0_S3E_T1_PT2_T3_T4_T5_iT6_T7_T8_T9_T10_T11_,"axG",@progbits,_ZN2ck16tensor_operation6device12_GLOBAL__N_137kernel_grouped_conv_fwd_dl_multiple_dINS_32GridwiseGemmDlMultipleD_km_kn_mnILi256EaiNS_5TupleIJaEEEaNS0_12element_wise11PassThroughES8_NS7_7AddReluELNS_25InMemoryDataOperationEnumE0ENS_16TensorDescriptorINS5_IJNS_5EmbedINS5_IJiiiiiEEESD_Lb0EEENS_11PassThroughIiEENS_3PadIiiiLb0EEESI_SI_SG_SG_NSC_INS5_IJiiEEESJ_Lb0EEESK_SK_SG_NS_23Merge_v2_magic_divisionINS5_IJiiiiEEEEESN_NS_8RightPadIiiLb0EEESP_NS_7UnMergeISJ_Lb0EEESG_EEENS5_IJNS_8SequenceIJLi0EEEENST_IJLi1EEEENST_IJLi2EEEENST_IJLi3EEEENST_IJLi4EEEENST_IJLi5EEEENST_IJLi6EEEENST_IJLi7EEEENST_IJLi8EEEENST_IJLi9EEEENST_IJLi10EEEENST_IJLi11ELi13ELi15ELi17EEEENST_IJLi12ELi14ELi16ELi18EEEENST_IJLi19EEEENST_IJLi20EEEENST_IJLi22EEEENST_IJLi21EEEEEEENS5_IJNST_IJLi1ELi2ELi3ELi4ELi5EEEES10_S11_S12_S13_S14_NST_IJLi11EEEENST_IJLi12ELi13EEEENST_IJLi14ELi15EEEENST_IJLi16ELi17EEEENST_IJLi18EEEES17_S18_S1A_S19_NST_IJLi23ELi24EEEENST_IJLi25EEEEEEENST_IJLi23ELi25ELi24EEEElEENSB_INS5_IJSR_SP_SP_SR_SG_EEENS5_IJSU_SV_SW_SY_SX_EEENS5_IJNST_IJLi1ELi2EEEESX_SY_NST_IJLi5ELi6EEEES11_EEENST_IJLi5ELi7ELi6EEEElEENSB_INS5_IJSK_SP_SP_EEENS5_IJSU_SV_SW_EEENS5_IJS1P_SX_SY_EEENST_IJLi3ELi4EEEElEELi128ELi128ELi16ELi4ELi4ELi4ELi1ENST_IJLi8ELi2EEEES1Z_NST_IJLi8ELi1ELi1ELi4EEEENST_IJLi2ELi1ELi128ELi1EEEENST_IJLi1ELi2ELi0ELi3EEEES22_NST_IJLi4ELi1ELi1ELi4EEEES22_NST_IJLi1ELi1ELi1ELi4EEEES20_S21_S22_S22_S23_S22_S24_NST_IJLi0ELi1ELi2ELi3ELi4ELi5EEEELi5ELi4EEEaNS5_IJPKaEEEaS8_S8_S9_NSB_INS5_IJSE_SG_SI_SI_SI_SG_SG_SK_SK_SK_SG_SN_SN_SP_SP_SR_SG_SG_NSQ_INS5_IJiNS_17integral_constantIiLi128EEEEEELb0EEENSF_INS2A_IiLi4EEEEEEEENS5_IJSU_SV_SW_SX_SY_SZ_S10_S11_S12_S13_S14_S15_S16_S17_S18_S19_S1A_NST_IJLi23EEEES1J_NST_IJLi24EEEEEEENS5_IJS1C_S10_S11_S12_S13_S14_S1D_S1E_S1F_S1G_S1H_S17_S18_S1A_S19_S1I_S1J_NST_IJLi26EEEENST_IJLi27ELi28EEEENST_IJLi29EEEEEEENST_IJLi26ELi27ELi28ELi29EEEElEENSB_INS5_IJSR_SP_SP_SR_SG_SG_S2D_S2F_EEENS5_IJSU_SV_SW_SY_SX_SZ_S11_S10_EEENS5_IJS1P_SX_SY_S1Q_S11_S12_NST_IJLi9ELi10EEEES1D_EEENST_IJLi8ELi9ELi10ELi11EEEElEENS5_IJNSB_INS5_IJSK_SP_SP_NSQ_INS5_IJiNS2A_IiLi2EEENS2A_IiLi64EEEEEELb0EEES2Z_EEENS5_IJSU_SV_SW_SX_SY_EEENS5_IJS1P_SX_SY_NST_IJLi5ELi6ELi7EEEENST_IJLi8ELi9ELi10EEEEEEENST_IJLi5ELi6ELi7ELi8ELi9ELi10EEEElEEEEES36_NS_31BlockToCTileMap_M00_N00_M01_N01ILi128ELi128ES1Y_Lb0EEENS1_30ComputePtrOffsetOfStridedBatchILi1ELi1ELi1EvEELb0ELb0EEEvPKT0_S3E_T1_PT2_T3_T4_T5_iT6_T7_T8_T9_T10_T11_,comdat
.Lfunc_end13:
	.size	_ZN2ck16tensor_operation6device12_GLOBAL__N_137kernel_grouped_conv_fwd_dl_multiple_dINS_32GridwiseGemmDlMultipleD_km_kn_mnILi256EaiNS_5TupleIJaEEEaNS0_12element_wise11PassThroughES8_NS7_7AddReluELNS_25InMemoryDataOperationEnumE0ENS_16TensorDescriptorINS5_IJNS_5EmbedINS5_IJiiiiiEEESD_Lb0EEENS_11PassThroughIiEENS_3PadIiiiLb0EEESI_SI_SG_SG_NSC_INS5_IJiiEEESJ_Lb0EEESK_SK_SG_NS_23Merge_v2_magic_divisionINS5_IJiiiiEEEEESN_NS_8RightPadIiiLb0EEESP_NS_7UnMergeISJ_Lb0EEESG_EEENS5_IJNS_8SequenceIJLi0EEEENST_IJLi1EEEENST_IJLi2EEEENST_IJLi3EEEENST_IJLi4EEEENST_IJLi5EEEENST_IJLi6EEEENST_IJLi7EEEENST_IJLi8EEEENST_IJLi9EEEENST_IJLi10EEEENST_IJLi11ELi13ELi15ELi17EEEENST_IJLi12ELi14ELi16ELi18EEEENST_IJLi19EEEENST_IJLi20EEEENST_IJLi22EEEENST_IJLi21EEEEEEENS5_IJNST_IJLi1ELi2ELi3ELi4ELi5EEEES10_S11_S12_S13_S14_NST_IJLi11EEEENST_IJLi12ELi13EEEENST_IJLi14ELi15EEEENST_IJLi16ELi17EEEENST_IJLi18EEEES17_S18_S1A_S19_NST_IJLi23ELi24EEEENST_IJLi25EEEEEEENST_IJLi23ELi25ELi24EEEElEENSB_INS5_IJSR_SP_SP_SR_SG_EEENS5_IJSU_SV_SW_SY_SX_EEENS5_IJNST_IJLi1ELi2EEEESX_SY_NST_IJLi5ELi6EEEES11_EEENST_IJLi5ELi7ELi6EEEElEENSB_INS5_IJSK_SP_SP_EEENS5_IJSU_SV_SW_EEENS5_IJS1P_SX_SY_EEENST_IJLi3ELi4EEEElEELi128ELi128ELi16ELi4ELi4ELi4ELi1ENST_IJLi8ELi2EEEES1Z_NST_IJLi8ELi1ELi1ELi4EEEENST_IJLi2ELi1ELi128ELi1EEEENST_IJLi1ELi2ELi0ELi3EEEES22_NST_IJLi4ELi1ELi1ELi4EEEES22_NST_IJLi1ELi1ELi1ELi4EEEES20_S21_S22_S22_S23_S22_S24_NST_IJLi0ELi1ELi2ELi3ELi4ELi5EEEELi5ELi4EEEaNS5_IJPKaEEEaS8_S8_S9_NSB_INS5_IJSE_SG_SI_SI_SI_SG_SG_SK_SK_SK_SG_SN_SN_SP_SP_SR_SG_SG_NSQ_INS5_IJiNS_17integral_constantIiLi128EEEEEELb0EEENSF_INS2A_IiLi4EEEEEEEENS5_IJSU_SV_SW_SX_SY_SZ_S10_S11_S12_S13_S14_S15_S16_S17_S18_S19_S1A_NST_IJLi23EEEES1J_NST_IJLi24EEEEEEENS5_IJS1C_S10_S11_S12_S13_S14_S1D_S1E_S1F_S1G_S1H_S17_S18_S1A_S19_S1I_S1J_NST_IJLi26EEEENST_IJLi27ELi28EEEENST_IJLi29EEEEEEENST_IJLi26ELi27ELi28ELi29EEEElEENSB_INS5_IJSR_SP_SP_SR_SG_SG_S2D_S2F_EEENS5_IJSU_SV_SW_SY_SX_SZ_S11_S10_EEENS5_IJS1P_SX_SY_S1Q_S11_S12_NST_IJLi9ELi10EEEES1D_EEENST_IJLi8ELi9ELi10ELi11EEEElEENS5_IJNSB_INS5_IJSK_SP_SP_NSQ_INS5_IJiNS2A_IiLi2EEENS2A_IiLi64EEEEEELb0EEES2Z_EEENS5_IJSU_SV_SW_SX_SY_EEENS5_IJS1P_SX_SY_NST_IJLi5ELi6ELi7EEEENST_IJLi8ELi9ELi10EEEEEEENST_IJLi5ELi6ELi7ELi8ELi9ELi10EEEElEEEEES36_NS_31BlockToCTileMap_M00_N00_M01_N01ILi128ELi128ES1Y_Lb0EEENS1_30ComputePtrOffsetOfStridedBatchILi1ELi1ELi1EvEELb0ELb0EEEvPKT0_S3E_T1_PT2_T3_T4_T5_iT6_T7_T8_T9_T10_T11_, .Lfunc_end13-_ZN2ck16tensor_operation6device12_GLOBAL__N_137kernel_grouped_conv_fwd_dl_multiple_dINS_32GridwiseGemmDlMultipleD_km_kn_mnILi256EaiNS_5TupleIJaEEEaNS0_12element_wise11PassThroughES8_NS7_7AddReluELNS_25InMemoryDataOperationEnumE0ENS_16TensorDescriptorINS5_IJNS_5EmbedINS5_IJiiiiiEEESD_Lb0EEENS_11PassThroughIiEENS_3PadIiiiLb0EEESI_SI_SG_SG_NSC_INS5_IJiiEEESJ_Lb0EEESK_SK_SG_NS_23Merge_v2_magic_divisionINS5_IJiiiiEEEEESN_NS_8RightPadIiiLb0EEESP_NS_7UnMergeISJ_Lb0EEESG_EEENS5_IJNS_8SequenceIJLi0EEEENST_IJLi1EEEENST_IJLi2EEEENST_IJLi3EEEENST_IJLi4EEEENST_IJLi5EEEENST_IJLi6EEEENST_IJLi7EEEENST_IJLi8EEEENST_IJLi9EEEENST_IJLi10EEEENST_IJLi11ELi13ELi15ELi17EEEENST_IJLi12ELi14ELi16ELi18EEEENST_IJLi19EEEENST_IJLi20EEEENST_IJLi22EEEENST_IJLi21EEEEEEENS5_IJNST_IJLi1ELi2ELi3ELi4ELi5EEEES10_S11_S12_S13_S14_NST_IJLi11EEEENST_IJLi12ELi13EEEENST_IJLi14ELi15EEEENST_IJLi16ELi17EEEENST_IJLi18EEEES17_S18_S1A_S19_NST_IJLi23ELi24EEEENST_IJLi25EEEEEEENST_IJLi23ELi25ELi24EEEElEENSB_INS5_IJSR_SP_SP_SR_SG_EEENS5_IJSU_SV_SW_SY_SX_EEENS5_IJNST_IJLi1ELi2EEEESX_SY_NST_IJLi5ELi6EEEES11_EEENST_IJLi5ELi7ELi6EEEElEENSB_INS5_IJSK_SP_SP_EEENS5_IJSU_SV_SW_EEENS5_IJS1P_SX_SY_EEENST_IJLi3ELi4EEEElEELi128ELi128ELi16ELi4ELi4ELi4ELi1ENST_IJLi8ELi2EEEES1Z_NST_IJLi8ELi1ELi1ELi4EEEENST_IJLi2ELi1ELi128ELi1EEEENST_IJLi1ELi2ELi0ELi3EEEES22_NST_IJLi4ELi1ELi1ELi4EEEES22_NST_IJLi1ELi1ELi1ELi4EEEES20_S21_S22_S22_S23_S22_S24_NST_IJLi0ELi1ELi2ELi3ELi4ELi5EEEELi5ELi4EEEaNS5_IJPKaEEEaS8_S8_S9_NSB_INS5_IJSE_SG_SI_SI_SI_SG_SG_SK_SK_SK_SG_SN_SN_SP_SP_SR_SG_SG_NSQ_INS5_IJiNS_17integral_constantIiLi128EEEEEELb0EEENSF_INS2A_IiLi4EEEEEEEENS5_IJSU_SV_SW_SX_SY_SZ_S10_S11_S12_S13_S14_S15_S16_S17_S18_S19_S1A_NST_IJLi23EEEES1J_NST_IJLi24EEEEEEENS5_IJS1C_S10_S11_S12_S13_S14_S1D_S1E_S1F_S1G_S1H_S17_S18_S1A_S19_S1I_S1J_NST_IJLi26EEEENST_IJLi27ELi28EEEENST_IJLi29EEEEEEENST_IJLi26ELi27ELi28ELi29EEEElEENSB_INS5_IJSR_SP_SP_SR_SG_SG_S2D_S2F_EEENS5_IJSU_SV_SW_SY_SX_SZ_S11_S10_EEENS5_IJS1P_SX_SY_S1Q_S11_S12_NST_IJLi9ELi10EEEES1D_EEENST_IJLi8ELi9ELi10ELi11EEEElEENS5_IJNSB_INS5_IJSK_SP_SP_NSQ_INS5_IJiNS2A_IiLi2EEENS2A_IiLi64EEEEEELb0EEES2Z_EEENS5_IJSU_SV_SW_SX_SY_EEENS5_IJS1P_SX_SY_NST_IJLi5ELi6ELi7EEEENST_IJLi8ELi9ELi10EEEEEEENST_IJLi5ELi6ELi7ELi8ELi9ELi10EEEElEEEEES36_NS_31BlockToCTileMap_M00_N00_M01_N01ILi128ELi128ES1Y_Lb0EEENS1_30ComputePtrOffsetOfStridedBatchILi1ELi1ELi1EvEELb0ELb0EEEvPKT0_S3E_T1_PT2_T3_T4_T5_iT6_T7_T8_T9_T10_T11_
                                        ; -- End function
	.section	.AMDGPU.csdata,"",@progbits
; Kernel info:
; codeLenInByte = 8264
; NumSgprs: 92
; NumVgprs: 90
; ScratchSize: 448
; MemoryBound: 0
; FloatMode: 240
; IeeeMode: 1
; LDSByteSize: 32768 bytes/workgroup (compile time only)
; SGPRBlocks: 11
; VGPRBlocks: 11
; NumSGPRsForWavesPerEU: 92
; NumVGPRsForWavesPerEU: 90
; Occupancy: 8
; WaveLimiterHint : 1
; COMPUTE_PGM_RSRC2:SCRATCH_EN: 1
; COMPUTE_PGM_RSRC2:USER_SGPR: 15
; COMPUTE_PGM_RSRC2:TRAP_HANDLER: 0
; COMPUTE_PGM_RSRC2:TGID_X_EN: 1
; COMPUTE_PGM_RSRC2:TGID_Y_EN: 0
; COMPUTE_PGM_RSRC2:TGID_Z_EN: 0
; COMPUTE_PGM_RSRC2:TIDIG_COMP_CNT: 0
	.text
	.p2alignl 7, 3214868480
	.fill 96, 4, 3214868480
	.type	__hip_cuid_b4bf7c350b421e69,@object ; @__hip_cuid_b4bf7c350b421e69
	.section	.bss,"aw",@nobits
	.globl	__hip_cuid_b4bf7c350b421e69
__hip_cuid_b4bf7c350b421e69:
	.byte	0                               ; 0x0
	.size	__hip_cuid_b4bf7c350b421e69, 1

	.ident	"AMD clang version 19.0.0git (https://github.com/RadeonOpenCompute/llvm-project roc-6.4.0 25133 c7fe45cf4b819c5991fe208aaa96edf142730f1d)"
	.section	".note.GNU-stack","",@progbits
	.addrsig
	.addrsig_sym __hip_cuid_b4bf7c350b421e69
	.amdgpu_metadata
---
amdhsa.kernels:
  - .args:           []
    .group_segment_fixed_size: 0
    .kernarg_segment_align: 4
    .kernarg_segment_size: 0
    .language:       OpenCL C
    .language_version:
      - 2
      - 0
    .max_flat_workgroup_size: 1024
    .name:           _ZN2ckL12flush_icacheEv
    .private_segment_fixed_size: 0
    .sgpr_count:     0
    .sgpr_spill_count: 0
    .symbol:         _ZN2ckL12flush_icacheEv.kd
    .uniform_work_group_size: 1
    .uses_dynamic_stack: false
    .vgpr_count:     0
    .vgpr_spill_count: 0
    .wavefront_size: 32
    .workgroup_processor_mode: 1
  - .args:
      - .address_space:  global
        .offset:         0
        .size:           8
        .value_kind:     global_buffer
      - .address_space:  global
        .offset:         8
        .size:           8
        .value_kind:     global_buffer
      - .address_space:  global
        .offset:         16
        .size:           8
        .value_kind:     global_buffer
      - .address_space:  global
        .offset:         24
        .size:           8
        .value_kind:     global_buffer
      - .offset:         32
        .size:           1
        .value_kind:     by_value
      - .offset:         33
        .size:           1
        .value_kind:     by_value
      - .offset:         34
        .size:           1
        .value_kind:     by_value
      - .offset:         36
        .size:           4
        .value_kind:     by_value
      - .offset:         40
        .size:           200
        .value_kind:     by_value
      - .offset:         240
        .size:           96
        .value_kind:     by_value
      - .offset:         336
        .size:           80
        .value_kind:     by_value
      - .offset:         416
        .size:           80
        .value_kind:     by_value
      - .offset:         496
        .size:           112
        .value_kind:     by_value
      - .offset:         608
        .size:           40
        .value_kind:     by_value
      - .offset:         648
        .size:           4
        .value_kind:     hidden_block_count_x
      - .offset:         652
        .size:           4
        .value_kind:     hidden_block_count_y
      - .offset:         656
        .size:           4
        .value_kind:     hidden_block_count_z
      - .offset:         660
        .size:           2
        .value_kind:     hidden_group_size_x
      - .offset:         662
        .size:           2
        .value_kind:     hidden_group_size_y
      - .offset:         664
        .size:           2
        .value_kind:     hidden_group_size_z
      - .offset:         666
        .size:           2
        .value_kind:     hidden_remainder_x
      - .offset:         668
        .size:           2
        .value_kind:     hidden_remainder_y
      - .offset:         670
        .size:           2
        .value_kind:     hidden_remainder_z
      - .offset:         688
        .size:           8
        .value_kind:     hidden_global_offset_x
      - .offset:         696
        .size:           8
        .value_kind:     hidden_global_offset_y
      - .offset:         704
        .size:           8
        .value_kind:     hidden_global_offset_z
      - .offset:         712
        .size:           2
        .value_kind:     hidden_grid_dims
    .group_segment_fixed_size: 32768
    .kernarg_segment_align: 8
    .kernarg_segment_size: 904
    .language:       OpenCL C
    .language_version:
      - 2
      - 0
    .max_flat_workgroup_size: 256
    .name:           _ZN2ck16tensor_operation6device12_GLOBAL__N_137kernel_grouped_conv_fwd_dl_multiple_dINS_32GridwiseGemmDlMultipleD_km_kn_mnILi256EaiNS_5TupleIJaEEEaNS0_12element_wise11PassThroughES8_NS7_7AddReluELNS_25InMemoryDataOperationEnumE0ENS_16TensorDescriptorINS5_IJNS_5EmbedINS5_IJiiiEEESD_Lb0EEENS_11PassThroughIiEENS_3PadIiiiLb0EEESG_SG_NSC_INS5_IJiiEEESJ_Lb0EEESG_NS_23Merge_v2_magic_divisionISJ_EESM_NS_8RightPadIiiLb0EEESO_NS_7UnMergeISJ_Lb0EEESG_EEENS5_IJNS_8SequenceIJLi0EEEENSS_IJLi1EEEENSS_IJLi2EEEENSS_IJLi3EEEENSS_IJLi4EEEENSS_IJLi5EEEENSS_IJLi6EEEENSS_IJLi7ELi9EEEENSS_IJLi8ELi10EEEENSS_IJLi11EEEENSS_IJLi12EEEENSS_IJLi14EEEENSS_IJLi13EEEEEEENS5_IJNSS_IJLi1ELi2ELi3EEEESX_SY_SZ_NSS_IJLi7EEEENSS_IJLi8ELi9EEEENSS_IJLi10EEEES12_S13_S15_S14_NSS_IJLi15ELi16EEEENSS_IJLi17EEEEEEENSS_IJLi15ELi17ELi16EEEElEENSB_INS5_IJSQ_SO_SO_SQ_SG_EEENS5_IJST_SU_SV_SX_SW_EEENS5_IJNSS_IJLi1ELi2EEEESW_SX_NSS_IJLi5ELi6EEEES18_EEENSS_IJLi5ELi7ELi6EEEElEENSB_INS5_IJSK_SO_SO_EEENS5_IJST_SU_SV_EEENS5_IJS1I_SW_SX_EEENSS_IJLi3ELi4EEEElEELi128ELi128ELi16ELi4ELi4ELi4ELi1ENSS_IJLi8ELi2EEEES1S_NSS_IJLi8ELi1ELi1ELi4EEEENSS_IJLi2ELi1ELi128ELi1EEEENSS_IJLi1ELi2ELi0ELi3EEEES1V_NSS_IJLi4ELi1ELi1ELi4EEEES1V_NSS_IJLi1ELi1ELi1ELi4EEEES1T_S1U_S1V_S1V_S1W_S1V_S1X_NSS_IJLi0ELi1ELi2ELi3ELi4ELi5EEEELi5ELi4EEEaNS5_IJPKaEEEaS8_S8_S9_NSB_INS5_IJSE_SG_SI_SG_SG_SK_SG_SM_SM_SO_SO_SQ_SG_SG_NSP_INS5_IJiNS_17integral_constantIiLi128EEEEEELb0EEENSF_INS23_IiLi4EEEEEEEENS5_IJST_SU_SV_SW_SX_SY_SZ_S10_S11_S12_S13_S14_S15_NSS_IJLi15EEEES1C_NSS_IJLi16EEEEEEENS5_IJS17_SX_SY_SZ_S18_S19_S1A_S12_S13_S15_S14_S1B_S1C_NSS_IJLi18EEEENSS_IJLi19ELi20EEEENSS_IJLi21EEEEEEENSS_IJLi18ELi19ELi20ELi21EEEElEENSB_INS5_IJSQ_SO_SO_SQ_SG_SG_S26_S28_EEENS5_IJST_SU_SV_SX_SW_SY_S18_SZ_EEENS5_IJS1I_SW_SX_S1J_S18_NSS_IJLi8EEEENSS_IJLi9ELi10EEEES12_EEENSS_IJLi8ELi9ELi10ELi11EEEElEENS5_IJNSB_INS5_IJSK_SO_SO_NSP_INS5_IJiNS23_IiLi2EEENS23_IiLi64EEEEEELb0EEES2T_EEENS5_IJST_SU_SV_SW_SX_EEENS5_IJS1I_SW_SX_NSS_IJLi5ELi6ELi7EEEENSS_IJLi8ELi9ELi10EEEEEEENSS_IJLi5ELi6ELi7ELi8ELi9ELi10EEEElEEEEES30_NS_31BlockToCTileMap_M00_N00_M01_N01ILi128ELi128ES1R_Lb0EEENS1_30ComputePtrOffsetOfStridedBatchILi1ELi1ELi1EvEELb1ELb1EEEvPKT0_S38_T1_PT2_T3_T4_T5_iT6_T7_T8_T9_T10_T11_
    .private_segment_fixed_size: 480
    .sgpr_count:     83
    .sgpr_spill_count: 0
    .symbol:         _ZN2ck16tensor_operation6device12_GLOBAL__N_137kernel_grouped_conv_fwd_dl_multiple_dINS_32GridwiseGemmDlMultipleD_km_kn_mnILi256EaiNS_5TupleIJaEEEaNS0_12element_wise11PassThroughES8_NS7_7AddReluELNS_25InMemoryDataOperationEnumE0ENS_16TensorDescriptorINS5_IJNS_5EmbedINS5_IJiiiEEESD_Lb0EEENS_11PassThroughIiEENS_3PadIiiiLb0EEESG_SG_NSC_INS5_IJiiEEESJ_Lb0EEESG_NS_23Merge_v2_magic_divisionISJ_EESM_NS_8RightPadIiiLb0EEESO_NS_7UnMergeISJ_Lb0EEESG_EEENS5_IJNS_8SequenceIJLi0EEEENSS_IJLi1EEEENSS_IJLi2EEEENSS_IJLi3EEEENSS_IJLi4EEEENSS_IJLi5EEEENSS_IJLi6EEEENSS_IJLi7ELi9EEEENSS_IJLi8ELi10EEEENSS_IJLi11EEEENSS_IJLi12EEEENSS_IJLi14EEEENSS_IJLi13EEEEEEENS5_IJNSS_IJLi1ELi2ELi3EEEESX_SY_SZ_NSS_IJLi7EEEENSS_IJLi8ELi9EEEENSS_IJLi10EEEES12_S13_S15_S14_NSS_IJLi15ELi16EEEENSS_IJLi17EEEEEEENSS_IJLi15ELi17ELi16EEEElEENSB_INS5_IJSQ_SO_SO_SQ_SG_EEENS5_IJST_SU_SV_SX_SW_EEENS5_IJNSS_IJLi1ELi2EEEESW_SX_NSS_IJLi5ELi6EEEES18_EEENSS_IJLi5ELi7ELi6EEEElEENSB_INS5_IJSK_SO_SO_EEENS5_IJST_SU_SV_EEENS5_IJS1I_SW_SX_EEENSS_IJLi3ELi4EEEElEELi128ELi128ELi16ELi4ELi4ELi4ELi1ENSS_IJLi8ELi2EEEES1S_NSS_IJLi8ELi1ELi1ELi4EEEENSS_IJLi2ELi1ELi128ELi1EEEENSS_IJLi1ELi2ELi0ELi3EEEES1V_NSS_IJLi4ELi1ELi1ELi4EEEES1V_NSS_IJLi1ELi1ELi1ELi4EEEES1T_S1U_S1V_S1V_S1W_S1V_S1X_NSS_IJLi0ELi1ELi2ELi3ELi4ELi5EEEELi5ELi4EEEaNS5_IJPKaEEEaS8_S8_S9_NSB_INS5_IJSE_SG_SI_SG_SG_SK_SG_SM_SM_SO_SO_SQ_SG_SG_NSP_INS5_IJiNS_17integral_constantIiLi128EEEEEELb0EEENSF_INS23_IiLi4EEEEEEEENS5_IJST_SU_SV_SW_SX_SY_SZ_S10_S11_S12_S13_S14_S15_NSS_IJLi15EEEES1C_NSS_IJLi16EEEEEEENS5_IJS17_SX_SY_SZ_S18_S19_S1A_S12_S13_S15_S14_S1B_S1C_NSS_IJLi18EEEENSS_IJLi19ELi20EEEENSS_IJLi21EEEEEEENSS_IJLi18ELi19ELi20ELi21EEEElEENSB_INS5_IJSQ_SO_SO_SQ_SG_SG_S26_S28_EEENS5_IJST_SU_SV_SX_SW_SY_S18_SZ_EEENS5_IJS1I_SW_SX_S1J_S18_NSS_IJLi8EEEENSS_IJLi9ELi10EEEES12_EEENSS_IJLi8ELi9ELi10ELi11EEEElEENS5_IJNSB_INS5_IJSK_SO_SO_NSP_INS5_IJiNS23_IiLi2EEENS23_IiLi64EEEEEELb0EEES2T_EEENS5_IJST_SU_SV_SW_SX_EEENS5_IJS1I_SW_SX_NSS_IJLi5ELi6ELi7EEEENSS_IJLi8ELi9ELi10EEEEEEENSS_IJLi5ELi6ELi7ELi8ELi9ELi10EEEElEEEEES30_NS_31BlockToCTileMap_M00_N00_M01_N01ILi128ELi128ES1R_Lb0EEENS1_30ComputePtrOffsetOfStridedBatchILi1ELi1ELi1EvEELb1ELb1EEEvPKT0_S38_T1_PT2_T3_T4_T5_iT6_T7_T8_T9_T10_T11_.kd
    .uniform_work_group_size: 1
    .uses_dynamic_stack: false
    .vgpr_count:     114
    .vgpr_spill_count: 0
    .wavefront_size: 32
    .workgroup_processor_mode: 1
  - .args:
      - .address_space:  global
        .offset:         0
        .size:           8
        .value_kind:     global_buffer
      - .address_space:  global
        .offset:         8
        .size:           8
        .value_kind:     global_buffer
      - .address_space:  global
        .offset:         16
        .size:           8
        .value_kind:     global_buffer
      - .address_space:  global
        .offset:         24
        .size:           8
        .value_kind:     global_buffer
      - .offset:         32
        .size:           1
        .value_kind:     by_value
      - .offset:         33
        .size:           1
        .value_kind:     by_value
      - .offset:         34
        .size:           1
        .value_kind:     by_value
      - .offset:         36
        .size:           4
        .value_kind:     by_value
      - .offset:         40
        .size:           200
        .value_kind:     by_value
      - .offset:         240
        .size:           96
        .value_kind:     by_value
      - .offset:         336
        .size:           80
        .value_kind:     by_value
      - .offset:         416
        .size:           80
        .value_kind:     by_value
      - .offset:         496
        .size:           112
        .value_kind:     by_value
      - .offset:         608
        .size:           40
        .value_kind:     by_value
      - .offset:         648
        .size:           4
        .value_kind:     hidden_block_count_x
      - .offset:         652
        .size:           4
        .value_kind:     hidden_block_count_y
      - .offset:         656
        .size:           4
        .value_kind:     hidden_block_count_z
      - .offset:         660
        .size:           2
        .value_kind:     hidden_group_size_x
      - .offset:         662
        .size:           2
        .value_kind:     hidden_group_size_y
      - .offset:         664
        .size:           2
        .value_kind:     hidden_group_size_z
      - .offset:         666
        .size:           2
        .value_kind:     hidden_remainder_x
      - .offset:         668
        .size:           2
        .value_kind:     hidden_remainder_y
      - .offset:         670
        .size:           2
        .value_kind:     hidden_remainder_z
      - .offset:         688
        .size:           8
        .value_kind:     hidden_global_offset_x
      - .offset:         696
        .size:           8
        .value_kind:     hidden_global_offset_y
      - .offset:         704
        .size:           8
        .value_kind:     hidden_global_offset_z
      - .offset:         712
        .size:           2
        .value_kind:     hidden_grid_dims
    .group_segment_fixed_size: 32768
    .kernarg_segment_align: 8
    .kernarg_segment_size: 904
    .language:       OpenCL C
    .language_version:
      - 2
      - 0
    .max_flat_workgroup_size: 256
    .name:           _ZN2ck16tensor_operation6device12_GLOBAL__N_137kernel_grouped_conv_fwd_dl_multiple_dINS_32GridwiseGemmDlMultipleD_km_kn_mnILi256EaiNS_5TupleIJaEEEaNS0_12element_wise11PassThroughES8_NS7_7AddReluELNS_25InMemoryDataOperationEnumE0ENS_16TensorDescriptorINS5_IJNS_5EmbedINS5_IJiiiEEESD_Lb0EEENS_11PassThroughIiEENS_3PadIiiiLb0EEESG_SG_NSC_INS5_IJiiEEESJ_Lb0EEESG_NS_23Merge_v2_magic_divisionISJ_EESM_NS_8RightPadIiiLb0EEESO_NS_7UnMergeISJ_Lb0EEESG_EEENS5_IJNS_8SequenceIJLi0EEEENSS_IJLi1EEEENSS_IJLi2EEEENSS_IJLi3EEEENSS_IJLi4EEEENSS_IJLi5EEEENSS_IJLi6EEEENSS_IJLi7ELi9EEEENSS_IJLi8ELi10EEEENSS_IJLi11EEEENSS_IJLi12EEEENSS_IJLi14EEEENSS_IJLi13EEEEEEENS5_IJNSS_IJLi1ELi2ELi3EEEESX_SY_SZ_NSS_IJLi7EEEENSS_IJLi8ELi9EEEENSS_IJLi10EEEES12_S13_S15_S14_NSS_IJLi15ELi16EEEENSS_IJLi17EEEEEEENSS_IJLi15ELi17ELi16EEEElEENSB_INS5_IJSQ_SO_SO_SQ_SG_EEENS5_IJST_SU_SV_SX_SW_EEENS5_IJNSS_IJLi1ELi2EEEESW_SX_NSS_IJLi5ELi6EEEES18_EEENSS_IJLi5ELi7ELi6EEEElEENSB_INS5_IJSK_SO_SO_EEENS5_IJST_SU_SV_EEENS5_IJS1I_SW_SX_EEENSS_IJLi3ELi4EEEElEELi128ELi128ELi16ELi4ELi4ELi4ELi1ENSS_IJLi8ELi2EEEES1S_NSS_IJLi8ELi1ELi1ELi4EEEENSS_IJLi2ELi1ELi128ELi1EEEENSS_IJLi1ELi2ELi0ELi3EEEES1V_NSS_IJLi4ELi1ELi1ELi4EEEES1V_NSS_IJLi1ELi1ELi1ELi4EEEES1T_S1U_S1V_S1V_S1W_S1V_S1X_NSS_IJLi0ELi1ELi2ELi3ELi4ELi5EEEELi5ELi4EEEaNS5_IJPKaEEEaS8_S8_S9_NSB_INS5_IJSE_SG_SI_SG_SG_SK_SG_SM_SM_SO_SO_SQ_SG_SG_NSP_INS5_IJiNS_17integral_constantIiLi128EEEEEELb0EEENSF_INS23_IiLi4EEEEEEEENS5_IJST_SU_SV_SW_SX_SY_SZ_S10_S11_S12_S13_S14_S15_NSS_IJLi15EEEES1C_NSS_IJLi16EEEEEEENS5_IJS17_SX_SY_SZ_S18_S19_S1A_S12_S13_S15_S14_S1B_S1C_NSS_IJLi18EEEENSS_IJLi19ELi20EEEENSS_IJLi21EEEEEEENSS_IJLi18ELi19ELi20ELi21EEEElEENSB_INS5_IJSQ_SO_SO_SQ_SG_SG_S26_S28_EEENS5_IJST_SU_SV_SX_SW_SY_S18_SZ_EEENS5_IJS1I_SW_SX_S1J_S18_NSS_IJLi8EEEENSS_IJLi9ELi10EEEES12_EEENSS_IJLi8ELi9ELi10ELi11EEEElEENS5_IJNSB_INS5_IJSK_SO_SO_NSP_INS5_IJiNS23_IiLi2EEENS23_IiLi64EEEEEELb0EEES2T_EEENS5_IJST_SU_SV_SW_SX_EEENS5_IJS1I_SW_SX_NSS_IJLi5ELi6ELi7EEEENSS_IJLi8ELi9ELi10EEEEEEENSS_IJLi5ELi6ELi7ELi8ELi9ELi10EEEElEEEEES30_NS_31BlockToCTileMap_M00_N00_M01_N01ILi128ELi128ES1R_Lb0EEENS1_30ComputePtrOffsetOfStridedBatchILi1ELi1ELi1EvEELb1ELb0EEEvPKT0_S38_T1_PT2_T3_T4_T5_iT6_T7_T8_T9_T10_T11_
    .private_segment_fixed_size: 480
    .sgpr_count:     80
    .sgpr_spill_count: 0
    .symbol:         _ZN2ck16tensor_operation6device12_GLOBAL__N_137kernel_grouped_conv_fwd_dl_multiple_dINS_32GridwiseGemmDlMultipleD_km_kn_mnILi256EaiNS_5TupleIJaEEEaNS0_12element_wise11PassThroughES8_NS7_7AddReluELNS_25InMemoryDataOperationEnumE0ENS_16TensorDescriptorINS5_IJNS_5EmbedINS5_IJiiiEEESD_Lb0EEENS_11PassThroughIiEENS_3PadIiiiLb0EEESG_SG_NSC_INS5_IJiiEEESJ_Lb0EEESG_NS_23Merge_v2_magic_divisionISJ_EESM_NS_8RightPadIiiLb0EEESO_NS_7UnMergeISJ_Lb0EEESG_EEENS5_IJNS_8SequenceIJLi0EEEENSS_IJLi1EEEENSS_IJLi2EEEENSS_IJLi3EEEENSS_IJLi4EEEENSS_IJLi5EEEENSS_IJLi6EEEENSS_IJLi7ELi9EEEENSS_IJLi8ELi10EEEENSS_IJLi11EEEENSS_IJLi12EEEENSS_IJLi14EEEENSS_IJLi13EEEEEEENS5_IJNSS_IJLi1ELi2ELi3EEEESX_SY_SZ_NSS_IJLi7EEEENSS_IJLi8ELi9EEEENSS_IJLi10EEEES12_S13_S15_S14_NSS_IJLi15ELi16EEEENSS_IJLi17EEEEEEENSS_IJLi15ELi17ELi16EEEElEENSB_INS5_IJSQ_SO_SO_SQ_SG_EEENS5_IJST_SU_SV_SX_SW_EEENS5_IJNSS_IJLi1ELi2EEEESW_SX_NSS_IJLi5ELi6EEEES18_EEENSS_IJLi5ELi7ELi6EEEElEENSB_INS5_IJSK_SO_SO_EEENS5_IJST_SU_SV_EEENS5_IJS1I_SW_SX_EEENSS_IJLi3ELi4EEEElEELi128ELi128ELi16ELi4ELi4ELi4ELi1ENSS_IJLi8ELi2EEEES1S_NSS_IJLi8ELi1ELi1ELi4EEEENSS_IJLi2ELi1ELi128ELi1EEEENSS_IJLi1ELi2ELi0ELi3EEEES1V_NSS_IJLi4ELi1ELi1ELi4EEEES1V_NSS_IJLi1ELi1ELi1ELi4EEEES1T_S1U_S1V_S1V_S1W_S1V_S1X_NSS_IJLi0ELi1ELi2ELi3ELi4ELi5EEEELi5ELi4EEEaNS5_IJPKaEEEaS8_S8_S9_NSB_INS5_IJSE_SG_SI_SG_SG_SK_SG_SM_SM_SO_SO_SQ_SG_SG_NSP_INS5_IJiNS_17integral_constantIiLi128EEEEEELb0EEENSF_INS23_IiLi4EEEEEEEENS5_IJST_SU_SV_SW_SX_SY_SZ_S10_S11_S12_S13_S14_S15_NSS_IJLi15EEEES1C_NSS_IJLi16EEEEEEENS5_IJS17_SX_SY_SZ_S18_S19_S1A_S12_S13_S15_S14_S1B_S1C_NSS_IJLi18EEEENSS_IJLi19ELi20EEEENSS_IJLi21EEEEEEENSS_IJLi18ELi19ELi20ELi21EEEElEENSB_INS5_IJSQ_SO_SO_SQ_SG_SG_S26_S28_EEENS5_IJST_SU_SV_SX_SW_SY_S18_SZ_EEENS5_IJS1I_SW_SX_S1J_S18_NSS_IJLi8EEEENSS_IJLi9ELi10EEEES12_EEENSS_IJLi8ELi9ELi10ELi11EEEElEENS5_IJNSB_INS5_IJSK_SO_SO_NSP_INS5_IJiNS23_IiLi2EEENS23_IiLi64EEEEEELb0EEES2T_EEENS5_IJST_SU_SV_SW_SX_EEENS5_IJS1I_SW_SX_NSS_IJLi5ELi6ELi7EEEENSS_IJLi8ELi9ELi10EEEEEEENSS_IJLi5ELi6ELi7ELi8ELi9ELi10EEEElEEEEES30_NS_31BlockToCTileMap_M00_N00_M01_N01ILi128ELi128ES1R_Lb0EEENS1_30ComputePtrOffsetOfStridedBatchILi1ELi1ELi1EvEELb1ELb0EEEvPKT0_S38_T1_PT2_T3_T4_T5_iT6_T7_T8_T9_T10_T11_.kd
    .uniform_work_group_size: 1
    .uses_dynamic_stack: false
    .vgpr_count:     112
    .vgpr_spill_count: 0
    .wavefront_size: 32
    .workgroup_processor_mode: 1
  - .args:
      - .address_space:  global
        .offset:         0
        .size:           8
        .value_kind:     global_buffer
      - .address_space:  global
        .offset:         8
        .size:           8
        .value_kind:     global_buffer
      - .address_space:  global
        .offset:         16
        .size:           8
        .value_kind:     global_buffer
      - .address_space:  global
        .offset:         24
        .size:           8
        .value_kind:     global_buffer
      - .offset:         32
        .size:           1
        .value_kind:     by_value
      - .offset:         33
        .size:           1
        .value_kind:     by_value
      - .offset:         34
        .size:           1
        .value_kind:     by_value
      - .offset:         36
        .size:           4
        .value_kind:     by_value
      - .offset:         40
        .size:           200
        .value_kind:     by_value
      - .offset:         240
        .size:           96
        .value_kind:     by_value
      - .offset:         336
        .size:           80
        .value_kind:     by_value
      - .offset:         416
        .size:           80
        .value_kind:     by_value
      - .offset:         496
        .size:           112
        .value_kind:     by_value
      - .offset:         608
        .size:           40
        .value_kind:     by_value
      - .offset:         648
        .size:           4
        .value_kind:     hidden_block_count_x
      - .offset:         652
        .size:           4
        .value_kind:     hidden_block_count_y
      - .offset:         656
        .size:           4
        .value_kind:     hidden_block_count_z
      - .offset:         660
        .size:           2
        .value_kind:     hidden_group_size_x
      - .offset:         662
        .size:           2
        .value_kind:     hidden_group_size_y
      - .offset:         664
        .size:           2
        .value_kind:     hidden_group_size_z
      - .offset:         666
        .size:           2
        .value_kind:     hidden_remainder_x
      - .offset:         668
        .size:           2
        .value_kind:     hidden_remainder_y
      - .offset:         670
        .size:           2
        .value_kind:     hidden_remainder_z
      - .offset:         688
        .size:           8
        .value_kind:     hidden_global_offset_x
      - .offset:         696
        .size:           8
        .value_kind:     hidden_global_offset_y
      - .offset:         704
        .size:           8
        .value_kind:     hidden_global_offset_z
      - .offset:         712
        .size:           2
        .value_kind:     hidden_grid_dims
    .group_segment_fixed_size: 32768
    .kernarg_segment_align: 8
    .kernarg_segment_size: 904
    .language:       OpenCL C
    .language_version:
      - 2
      - 0
    .max_flat_workgroup_size: 256
    .name:           _ZN2ck16tensor_operation6device12_GLOBAL__N_137kernel_grouped_conv_fwd_dl_multiple_dINS_32GridwiseGemmDlMultipleD_km_kn_mnILi256EaiNS_5TupleIJaEEEaNS0_12element_wise11PassThroughES8_NS7_7AddReluELNS_25InMemoryDataOperationEnumE0ENS_16TensorDescriptorINS5_IJNS_5EmbedINS5_IJiiiEEESD_Lb0EEENS_11PassThroughIiEENS_3PadIiiiLb0EEESG_SG_NSC_INS5_IJiiEEESJ_Lb0EEESG_NS_23Merge_v2_magic_divisionISJ_EESM_NS_8RightPadIiiLb0EEESO_NS_7UnMergeISJ_Lb0EEESG_EEENS5_IJNS_8SequenceIJLi0EEEENSS_IJLi1EEEENSS_IJLi2EEEENSS_IJLi3EEEENSS_IJLi4EEEENSS_IJLi5EEEENSS_IJLi6EEEENSS_IJLi7ELi9EEEENSS_IJLi8ELi10EEEENSS_IJLi11EEEENSS_IJLi12EEEENSS_IJLi14EEEENSS_IJLi13EEEEEEENS5_IJNSS_IJLi1ELi2ELi3EEEESX_SY_SZ_NSS_IJLi7EEEENSS_IJLi8ELi9EEEENSS_IJLi10EEEES12_S13_S15_S14_NSS_IJLi15ELi16EEEENSS_IJLi17EEEEEEENSS_IJLi15ELi17ELi16EEEElEENSB_INS5_IJSQ_SO_SO_SQ_SG_EEENS5_IJST_SU_SV_SX_SW_EEENS5_IJNSS_IJLi1ELi2EEEESW_SX_NSS_IJLi5ELi6EEEES18_EEENSS_IJLi5ELi7ELi6EEEElEENSB_INS5_IJSK_SO_SO_EEENS5_IJST_SU_SV_EEENS5_IJS1I_SW_SX_EEENSS_IJLi3ELi4EEEElEELi128ELi128ELi16ELi4ELi4ELi4ELi1ENSS_IJLi8ELi2EEEES1S_NSS_IJLi8ELi1ELi1ELi4EEEENSS_IJLi2ELi1ELi128ELi1EEEENSS_IJLi1ELi2ELi0ELi3EEEES1V_NSS_IJLi4ELi1ELi1ELi4EEEES1V_NSS_IJLi1ELi1ELi1ELi4EEEES1T_S1U_S1V_S1V_S1W_S1V_S1X_NSS_IJLi0ELi1ELi2ELi3ELi4ELi5EEEELi5ELi4EEEaNS5_IJPKaEEEaS8_S8_S9_NSB_INS5_IJSE_SG_SI_SG_SG_SK_SG_SM_SM_SO_SO_SQ_SG_SG_NSP_INS5_IJiNS_17integral_constantIiLi128EEEEEELb0EEENSF_INS23_IiLi4EEEEEEEENS5_IJST_SU_SV_SW_SX_SY_SZ_S10_S11_S12_S13_S14_S15_NSS_IJLi15EEEES1C_NSS_IJLi16EEEEEEENS5_IJS17_SX_SY_SZ_S18_S19_S1A_S12_S13_S15_S14_S1B_S1C_NSS_IJLi18EEEENSS_IJLi19ELi20EEEENSS_IJLi21EEEEEEENSS_IJLi18ELi19ELi20ELi21EEEElEENSB_INS5_IJSQ_SO_SO_SQ_SG_SG_S26_S28_EEENS5_IJST_SU_SV_SX_SW_SY_S18_SZ_EEENS5_IJS1I_SW_SX_S1J_S18_NSS_IJLi8EEEENSS_IJLi9ELi10EEEES12_EEENSS_IJLi8ELi9ELi10ELi11EEEElEENS5_IJNSB_INS5_IJSK_SO_SO_NSP_INS5_IJiNS23_IiLi2EEENS23_IiLi64EEEEEELb0EEES2T_EEENS5_IJST_SU_SV_SW_SX_EEENS5_IJS1I_SW_SX_NSS_IJLi5ELi6ELi7EEEENSS_IJLi8ELi9ELi10EEEEEEENSS_IJLi5ELi6ELi7ELi8ELi9ELi10EEEElEEEEES30_NS_31BlockToCTileMap_M00_N00_M01_N01ILi128ELi128ES1R_Lb0EEENS1_30ComputePtrOffsetOfStridedBatchILi1ELi1ELi1EvEELb0ELb1EEEvPKT0_S38_T1_PT2_T3_T4_T5_iT6_T7_T8_T9_T10_T11_
    .private_segment_fixed_size: 480
    .sgpr_count:     69
    .sgpr_spill_count: 0
    .symbol:         _ZN2ck16tensor_operation6device12_GLOBAL__N_137kernel_grouped_conv_fwd_dl_multiple_dINS_32GridwiseGemmDlMultipleD_km_kn_mnILi256EaiNS_5TupleIJaEEEaNS0_12element_wise11PassThroughES8_NS7_7AddReluELNS_25InMemoryDataOperationEnumE0ENS_16TensorDescriptorINS5_IJNS_5EmbedINS5_IJiiiEEESD_Lb0EEENS_11PassThroughIiEENS_3PadIiiiLb0EEESG_SG_NSC_INS5_IJiiEEESJ_Lb0EEESG_NS_23Merge_v2_magic_divisionISJ_EESM_NS_8RightPadIiiLb0EEESO_NS_7UnMergeISJ_Lb0EEESG_EEENS5_IJNS_8SequenceIJLi0EEEENSS_IJLi1EEEENSS_IJLi2EEEENSS_IJLi3EEEENSS_IJLi4EEEENSS_IJLi5EEEENSS_IJLi6EEEENSS_IJLi7ELi9EEEENSS_IJLi8ELi10EEEENSS_IJLi11EEEENSS_IJLi12EEEENSS_IJLi14EEEENSS_IJLi13EEEEEEENS5_IJNSS_IJLi1ELi2ELi3EEEESX_SY_SZ_NSS_IJLi7EEEENSS_IJLi8ELi9EEEENSS_IJLi10EEEES12_S13_S15_S14_NSS_IJLi15ELi16EEEENSS_IJLi17EEEEEEENSS_IJLi15ELi17ELi16EEEElEENSB_INS5_IJSQ_SO_SO_SQ_SG_EEENS5_IJST_SU_SV_SX_SW_EEENS5_IJNSS_IJLi1ELi2EEEESW_SX_NSS_IJLi5ELi6EEEES18_EEENSS_IJLi5ELi7ELi6EEEElEENSB_INS5_IJSK_SO_SO_EEENS5_IJST_SU_SV_EEENS5_IJS1I_SW_SX_EEENSS_IJLi3ELi4EEEElEELi128ELi128ELi16ELi4ELi4ELi4ELi1ENSS_IJLi8ELi2EEEES1S_NSS_IJLi8ELi1ELi1ELi4EEEENSS_IJLi2ELi1ELi128ELi1EEEENSS_IJLi1ELi2ELi0ELi3EEEES1V_NSS_IJLi4ELi1ELi1ELi4EEEES1V_NSS_IJLi1ELi1ELi1ELi4EEEES1T_S1U_S1V_S1V_S1W_S1V_S1X_NSS_IJLi0ELi1ELi2ELi3ELi4ELi5EEEELi5ELi4EEEaNS5_IJPKaEEEaS8_S8_S9_NSB_INS5_IJSE_SG_SI_SG_SG_SK_SG_SM_SM_SO_SO_SQ_SG_SG_NSP_INS5_IJiNS_17integral_constantIiLi128EEEEEELb0EEENSF_INS23_IiLi4EEEEEEEENS5_IJST_SU_SV_SW_SX_SY_SZ_S10_S11_S12_S13_S14_S15_NSS_IJLi15EEEES1C_NSS_IJLi16EEEEEEENS5_IJS17_SX_SY_SZ_S18_S19_S1A_S12_S13_S15_S14_S1B_S1C_NSS_IJLi18EEEENSS_IJLi19ELi20EEEENSS_IJLi21EEEEEEENSS_IJLi18ELi19ELi20ELi21EEEElEENSB_INS5_IJSQ_SO_SO_SQ_SG_SG_S26_S28_EEENS5_IJST_SU_SV_SX_SW_SY_S18_SZ_EEENS5_IJS1I_SW_SX_S1J_S18_NSS_IJLi8EEEENSS_IJLi9ELi10EEEES12_EEENSS_IJLi8ELi9ELi10ELi11EEEElEENS5_IJNSB_INS5_IJSK_SO_SO_NSP_INS5_IJiNS23_IiLi2EEENS23_IiLi64EEEEEELb0EEES2T_EEENS5_IJST_SU_SV_SW_SX_EEENS5_IJS1I_SW_SX_NSS_IJLi5ELi6ELi7EEEENSS_IJLi8ELi9ELi10EEEEEEENSS_IJLi5ELi6ELi7ELi8ELi9ELi10EEEElEEEEES30_NS_31BlockToCTileMap_M00_N00_M01_N01ILi128ELi128ES1R_Lb0EEENS1_30ComputePtrOffsetOfStridedBatchILi1ELi1ELi1EvEELb0ELb1EEEvPKT0_S38_T1_PT2_T3_T4_T5_iT6_T7_T8_T9_T10_T11_.kd
    .uniform_work_group_size: 1
    .uses_dynamic_stack: false
    .vgpr_count:     90
    .vgpr_spill_count: 0
    .wavefront_size: 32
    .workgroup_processor_mode: 1
  - .args:
      - .address_space:  global
        .offset:         0
        .size:           8
        .value_kind:     global_buffer
      - .address_space:  global
        .offset:         8
        .size:           8
        .value_kind:     global_buffer
      - .address_space:  global
        .offset:         16
        .size:           8
        .value_kind:     global_buffer
      - .address_space:  global
        .offset:         24
        .size:           8
        .value_kind:     global_buffer
      - .offset:         32
        .size:           1
        .value_kind:     by_value
      - .offset:         33
        .size:           1
        .value_kind:     by_value
      - .offset:         34
        .size:           1
        .value_kind:     by_value
      - .offset:         36
        .size:           4
        .value_kind:     by_value
      - .offset:         40
        .size:           200
        .value_kind:     by_value
      - .offset:         240
        .size:           96
        .value_kind:     by_value
      - .offset:         336
        .size:           80
        .value_kind:     by_value
      - .offset:         416
        .size:           80
        .value_kind:     by_value
      - .offset:         496
        .size:           112
        .value_kind:     by_value
      - .offset:         608
        .size:           40
        .value_kind:     by_value
      - .offset:         648
        .size:           4
        .value_kind:     hidden_block_count_x
      - .offset:         652
        .size:           4
        .value_kind:     hidden_block_count_y
      - .offset:         656
        .size:           4
        .value_kind:     hidden_block_count_z
      - .offset:         660
        .size:           2
        .value_kind:     hidden_group_size_x
      - .offset:         662
        .size:           2
        .value_kind:     hidden_group_size_y
      - .offset:         664
        .size:           2
        .value_kind:     hidden_group_size_z
      - .offset:         666
        .size:           2
        .value_kind:     hidden_remainder_x
      - .offset:         668
        .size:           2
        .value_kind:     hidden_remainder_y
      - .offset:         670
        .size:           2
        .value_kind:     hidden_remainder_z
      - .offset:         688
        .size:           8
        .value_kind:     hidden_global_offset_x
      - .offset:         696
        .size:           8
        .value_kind:     hidden_global_offset_y
      - .offset:         704
        .size:           8
        .value_kind:     hidden_global_offset_z
      - .offset:         712
        .size:           2
        .value_kind:     hidden_grid_dims
    .group_segment_fixed_size: 32768
    .kernarg_segment_align: 8
    .kernarg_segment_size: 904
    .language:       OpenCL C
    .language_version:
      - 2
      - 0
    .max_flat_workgroup_size: 256
    .name:           _ZN2ck16tensor_operation6device12_GLOBAL__N_137kernel_grouped_conv_fwd_dl_multiple_dINS_32GridwiseGemmDlMultipleD_km_kn_mnILi256EaiNS_5TupleIJaEEEaNS0_12element_wise11PassThroughES8_NS7_7AddReluELNS_25InMemoryDataOperationEnumE0ENS_16TensorDescriptorINS5_IJNS_5EmbedINS5_IJiiiEEESD_Lb0EEENS_11PassThroughIiEENS_3PadIiiiLb0EEESG_SG_NSC_INS5_IJiiEEESJ_Lb0EEESG_NS_23Merge_v2_magic_divisionISJ_EESM_NS_8RightPadIiiLb0EEESO_NS_7UnMergeISJ_Lb0EEESG_EEENS5_IJNS_8SequenceIJLi0EEEENSS_IJLi1EEEENSS_IJLi2EEEENSS_IJLi3EEEENSS_IJLi4EEEENSS_IJLi5EEEENSS_IJLi6EEEENSS_IJLi7ELi9EEEENSS_IJLi8ELi10EEEENSS_IJLi11EEEENSS_IJLi12EEEENSS_IJLi14EEEENSS_IJLi13EEEEEEENS5_IJNSS_IJLi1ELi2ELi3EEEESX_SY_SZ_NSS_IJLi7EEEENSS_IJLi8ELi9EEEENSS_IJLi10EEEES12_S13_S15_S14_NSS_IJLi15ELi16EEEENSS_IJLi17EEEEEEENSS_IJLi15ELi17ELi16EEEElEENSB_INS5_IJSQ_SO_SO_SQ_SG_EEENS5_IJST_SU_SV_SX_SW_EEENS5_IJNSS_IJLi1ELi2EEEESW_SX_NSS_IJLi5ELi6EEEES18_EEENSS_IJLi5ELi7ELi6EEEElEENSB_INS5_IJSK_SO_SO_EEENS5_IJST_SU_SV_EEENS5_IJS1I_SW_SX_EEENSS_IJLi3ELi4EEEElEELi128ELi128ELi16ELi4ELi4ELi4ELi1ENSS_IJLi8ELi2EEEES1S_NSS_IJLi8ELi1ELi1ELi4EEEENSS_IJLi2ELi1ELi128ELi1EEEENSS_IJLi1ELi2ELi0ELi3EEEES1V_NSS_IJLi4ELi1ELi1ELi4EEEES1V_NSS_IJLi1ELi1ELi1ELi4EEEES1T_S1U_S1V_S1V_S1W_S1V_S1X_NSS_IJLi0ELi1ELi2ELi3ELi4ELi5EEEELi5ELi4EEEaNS5_IJPKaEEEaS8_S8_S9_NSB_INS5_IJSE_SG_SI_SG_SG_SK_SG_SM_SM_SO_SO_SQ_SG_SG_NSP_INS5_IJiNS_17integral_constantIiLi128EEEEEELb0EEENSF_INS23_IiLi4EEEEEEEENS5_IJST_SU_SV_SW_SX_SY_SZ_S10_S11_S12_S13_S14_S15_NSS_IJLi15EEEES1C_NSS_IJLi16EEEEEEENS5_IJS17_SX_SY_SZ_S18_S19_S1A_S12_S13_S15_S14_S1B_S1C_NSS_IJLi18EEEENSS_IJLi19ELi20EEEENSS_IJLi21EEEEEEENSS_IJLi18ELi19ELi20ELi21EEEElEENSB_INS5_IJSQ_SO_SO_SQ_SG_SG_S26_S28_EEENS5_IJST_SU_SV_SX_SW_SY_S18_SZ_EEENS5_IJS1I_SW_SX_S1J_S18_NSS_IJLi8EEEENSS_IJLi9ELi10EEEES12_EEENSS_IJLi8ELi9ELi10ELi11EEEElEENS5_IJNSB_INS5_IJSK_SO_SO_NSP_INS5_IJiNS23_IiLi2EEENS23_IiLi64EEEEEELb0EEES2T_EEENS5_IJST_SU_SV_SW_SX_EEENS5_IJS1I_SW_SX_NSS_IJLi5ELi6ELi7EEEENSS_IJLi8ELi9ELi10EEEEEEENSS_IJLi5ELi6ELi7ELi8ELi9ELi10EEEElEEEEES30_NS_31BlockToCTileMap_M00_N00_M01_N01ILi128ELi128ES1R_Lb0EEENS1_30ComputePtrOffsetOfStridedBatchILi1ELi1ELi1EvEELb0ELb0EEEvPKT0_S38_T1_PT2_T3_T4_T5_iT6_T7_T8_T9_T10_T11_
    .private_segment_fixed_size: 448
    .sgpr_count:     68
    .sgpr_spill_count: 0
    .symbol:         _ZN2ck16tensor_operation6device12_GLOBAL__N_137kernel_grouped_conv_fwd_dl_multiple_dINS_32GridwiseGemmDlMultipleD_km_kn_mnILi256EaiNS_5TupleIJaEEEaNS0_12element_wise11PassThroughES8_NS7_7AddReluELNS_25InMemoryDataOperationEnumE0ENS_16TensorDescriptorINS5_IJNS_5EmbedINS5_IJiiiEEESD_Lb0EEENS_11PassThroughIiEENS_3PadIiiiLb0EEESG_SG_NSC_INS5_IJiiEEESJ_Lb0EEESG_NS_23Merge_v2_magic_divisionISJ_EESM_NS_8RightPadIiiLb0EEESO_NS_7UnMergeISJ_Lb0EEESG_EEENS5_IJNS_8SequenceIJLi0EEEENSS_IJLi1EEEENSS_IJLi2EEEENSS_IJLi3EEEENSS_IJLi4EEEENSS_IJLi5EEEENSS_IJLi6EEEENSS_IJLi7ELi9EEEENSS_IJLi8ELi10EEEENSS_IJLi11EEEENSS_IJLi12EEEENSS_IJLi14EEEENSS_IJLi13EEEEEEENS5_IJNSS_IJLi1ELi2ELi3EEEESX_SY_SZ_NSS_IJLi7EEEENSS_IJLi8ELi9EEEENSS_IJLi10EEEES12_S13_S15_S14_NSS_IJLi15ELi16EEEENSS_IJLi17EEEEEEENSS_IJLi15ELi17ELi16EEEElEENSB_INS5_IJSQ_SO_SO_SQ_SG_EEENS5_IJST_SU_SV_SX_SW_EEENS5_IJNSS_IJLi1ELi2EEEESW_SX_NSS_IJLi5ELi6EEEES18_EEENSS_IJLi5ELi7ELi6EEEElEENSB_INS5_IJSK_SO_SO_EEENS5_IJST_SU_SV_EEENS5_IJS1I_SW_SX_EEENSS_IJLi3ELi4EEEElEELi128ELi128ELi16ELi4ELi4ELi4ELi1ENSS_IJLi8ELi2EEEES1S_NSS_IJLi8ELi1ELi1ELi4EEEENSS_IJLi2ELi1ELi128ELi1EEEENSS_IJLi1ELi2ELi0ELi3EEEES1V_NSS_IJLi4ELi1ELi1ELi4EEEES1V_NSS_IJLi1ELi1ELi1ELi4EEEES1T_S1U_S1V_S1V_S1W_S1V_S1X_NSS_IJLi0ELi1ELi2ELi3ELi4ELi5EEEELi5ELi4EEEaNS5_IJPKaEEEaS8_S8_S9_NSB_INS5_IJSE_SG_SI_SG_SG_SK_SG_SM_SM_SO_SO_SQ_SG_SG_NSP_INS5_IJiNS_17integral_constantIiLi128EEEEEELb0EEENSF_INS23_IiLi4EEEEEEEENS5_IJST_SU_SV_SW_SX_SY_SZ_S10_S11_S12_S13_S14_S15_NSS_IJLi15EEEES1C_NSS_IJLi16EEEEEEENS5_IJS17_SX_SY_SZ_S18_S19_S1A_S12_S13_S15_S14_S1B_S1C_NSS_IJLi18EEEENSS_IJLi19ELi20EEEENSS_IJLi21EEEEEEENSS_IJLi18ELi19ELi20ELi21EEEElEENSB_INS5_IJSQ_SO_SO_SQ_SG_SG_S26_S28_EEENS5_IJST_SU_SV_SX_SW_SY_S18_SZ_EEENS5_IJS1I_SW_SX_S1J_S18_NSS_IJLi8EEEENSS_IJLi9ELi10EEEES12_EEENSS_IJLi8ELi9ELi10ELi11EEEElEENS5_IJNSB_INS5_IJSK_SO_SO_NSP_INS5_IJiNS23_IiLi2EEENS23_IiLi64EEEEEELb0EEES2T_EEENS5_IJST_SU_SV_SW_SX_EEENS5_IJS1I_SW_SX_NSS_IJLi5ELi6ELi7EEEENSS_IJLi8ELi9ELi10EEEEEEENSS_IJLi5ELi6ELi7ELi8ELi9ELi10EEEElEEEEES30_NS_31BlockToCTileMap_M00_N00_M01_N01ILi128ELi128ES1R_Lb0EEENS1_30ComputePtrOffsetOfStridedBatchILi1ELi1ELi1EvEELb0ELb0EEEvPKT0_S38_T1_PT2_T3_T4_T5_iT6_T7_T8_T9_T10_T11_.kd
    .uniform_work_group_size: 1
    .uses_dynamic_stack: false
    .vgpr_count:     90
    .vgpr_spill_count: 0
    .wavefront_size: 32
    .workgroup_processor_mode: 1
  - .args:
      - .address_space:  global
        .offset:         0
        .size:           8
        .value_kind:     global_buffer
      - .address_space:  global
        .offset:         8
        .size:           8
        .value_kind:     global_buffer
      - .address_space:  global
        .offset:         16
        .size:           8
        .value_kind:     global_buffer
      - .address_space:  global
        .offset:         24
        .size:           8
        .value_kind:     global_buffer
      - .offset:         32
        .size:           1
        .value_kind:     by_value
      - .offset:         33
        .size:           1
        .value_kind:     by_value
      - .offset:         34
        .size:           1
        .value_kind:     by_value
      - .offset:         36
        .size:           4
        .value_kind:     by_value
      - .offset:         40
        .size:           264
        .value_kind:     by_value
      - .offset:         304
        .size:           96
        .value_kind:     by_value
      - .offset:         400
        .size:           80
        .value_kind:     by_value
      - .offset:         480
        .size:           80
        .value_kind:     by_value
      - .offset:         560
        .size:           112
        .value_kind:     by_value
      - .offset:         672
        .size:           40
        .value_kind:     by_value
      - .offset:         712
        .size:           4
        .value_kind:     hidden_block_count_x
      - .offset:         716
        .size:           4
        .value_kind:     hidden_block_count_y
      - .offset:         720
        .size:           4
        .value_kind:     hidden_block_count_z
      - .offset:         724
        .size:           2
        .value_kind:     hidden_group_size_x
      - .offset:         726
        .size:           2
        .value_kind:     hidden_group_size_y
      - .offset:         728
        .size:           2
        .value_kind:     hidden_group_size_z
      - .offset:         730
        .size:           2
        .value_kind:     hidden_remainder_x
      - .offset:         732
        .size:           2
        .value_kind:     hidden_remainder_y
      - .offset:         734
        .size:           2
        .value_kind:     hidden_remainder_z
      - .offset:         752
        .size:           8
        .value_kind:     hidden_global_offset_x
      - .offset:         760
        .size:           8
        .value_kind:     hidden_global_offset_y
      - .offset:         768
        .size:           8
        .value_kind:     hidden_global_offset_z
      - .offset:         776
        .size:           2
        .value_kind:     hidden_grid_dims
    .group_segment_fixed_size: 32768
    .kernarg_segment_align: 8
    .kernarg_segment_size: 968
    .language:       OpenCL C
    .language_version:
      - 2
      - 0
    .max_flat_workgroup_size: 256
    .name:           _ZN2ck16tensor_operation6device12_GLOBAL__N_137kernel_grouped_conv_fwd_dl_multiple_dINS_32GridwiseGemmDlMultipleD_km_kn_mnILi256EaiNS_5TupleIJaEEEaNS0_12element_wise11PassThroughES8_NS7_7AddReluELNS_25InMemoryDataOperationEnumE0ENS_16TensorDescriptorINS5_IJNS_5EmbedINS5_IJiiiiEEESD_Lb0EEENS_11PassThroughIiEENS_3PadIiiiLb0EEESI_SG_SG_NSC_INS5_IJiiEEESJ_Lb0EEESK_SG_NS_23Merge_v2_magic_divisionINS5_IJiiiEEEEESN_NS_8RightPadIiiLb0EEESP_NS_7UnMergeISJ_Lb0EEESG_EEENS5_IJNS_8SequenceIJLi0EEEENST_IJLi1EEEENST_IJLi2EEEENST_IJLi3EEEENST_IJLi4EEEENST_IJLi5EEEENST_IJLi6EEEENST_IJLi7EEEENST_IJLi8EEEENST_IJLi9ELi11ELi13EEEENST_IJLi10ELi12ELi14EEEENST_IJLi15EEEENST_IJLi16EEEENST_IJLi18EEEENST_IJLi17EEEEEEENS5_IJNST_IJLi1ELi2ELi3ELi4EEEESZ_S10_S11_S12_NST_IJLi9EEEENST_IJLi10ELi11EEEENST_IJLi12ELi13EEEENST_IJLi14EEEES15_S16_S18_S17_NST_IJLi19ELi20EEEENST_IJLi21EEEEEEENST_IJLi19ELi21ELi20EEEElEENSB_INS5_IJSR_SP_SP_SR_SG_EEENS5_IJSU_SV_SW_SY_SX_EEENS5_IJNST_IJLi1ELi2EEEESX_SY_NST_IJLi5ELi6EEEES11_EEENST_IJLi5ELi7ELi6EEEElEENSB_INS5_IJSK_SP_SP_EEENS5_IJSU_SV_SW_EEENS5_IJS1M_SX_SY_EEENST_IJLi3ELi4EEEElEELi128ELi128ELi16ELi4ELi4ELi4ELi1ENST_IJLi8ELi2EEEES1W_NST_IJLi8ELi1ELi1ELi4EEEENST_IJLi2ELi1ELi128ELi1EEEENST_IJLi1ELi2ELi0ELi3EEEES1Z_NST_IJLi4ELi1ELi1ELi4EEEES1Z_NST_IJLi1ELi1ELi1ELi4EEEES1X_S1Y_S1Z_S1Z_S20_S1Z_S21_NST_IJLi0ELi1ELi2ELi3ELi4ELi5EEEELi5ELi4EEEaNS5_IJPKaEEEaS8_S8_S9_NSB_INS5_IJSE_SG_SI_SI_SG_SG_SK_SK_SG_SN_SN_SP_SP_SR_SG_SG_NSQ_INS5_IJiNS_17integral_constantIiLi128EEEEEELb0EEENSF_INS27_IiLi4EEEEEEEENS5_IJSU_SV_SW_SX_SY_SZ_S10_S11_S12_S13_S14_S15_S16_S17_S18_NST_IJLi19EEEES1G_NST_IJLi20EEEEEEENS5_IJS1A_SZ_S10_S11_S12_S1B_S1C_S1D_S1E_S15_S16_S18_S17_S1F_S1G_NST_IJLi22EEEENST_IJLi23ELi24EEEENST_IJLi25EEEEEEENST_IJLi22ELi23ELi24ELi25EEEElEENSB_INS5_IJSR_SP_SP_SR_SG_SG_S2A_S2C_EEENS5_IJSU_SV_SW_SY_SX_SZ_S11_S10_EEENS5_IJS1M_SX_SY_S1N_S11_S12_NST_IJLi9ELi10EEEENST_IJLi11EEEEEEENST_IJLi8ELi9ELi10ELi11EEEElEENS5_IJNSB_INS5_IJSK_SP_SP_NSQ_INS5_IJiNS27_IiLi2EEENS27_IiLi64EEEEEELb0EEES2X_EEENS5_IJSU_SV_SW_SX_SY_EEENS5_IJS1M_SX_SY_NST_IJLi5ELi6ELi7EEEENST_IJLi8ELi9ELi10EEEEEEENST_IJLi5ELi6ELi7ELi8ELi9ELi10EEEElEEEEES34_NS_31BlockToCTileMap_M00_N00_M01_N01ILi128ELi128ES1V_Lb0EEENS1_30ComputePtrOffsetOfStridedBatchILi1ELi1ELi1EvEELb1ELb1EEEvPKT0_S3C_T1_PT2_T3_T4_T5_iT6_T7_T8_T9_T10_T11_
    .private_segment_fixed_size: 480
    .sgpr_count:     94
    .sgpr_spill_count: 0
    .symbol:         _ZN2ck16tensor_operation6device12_GLOBAL__N_137kernel_grouped_conv_fwd_dl_multiple_dINS_32GridwiseGemmDlMultipleD_km_kn_mnILi256EaiNS_5TupleIJaEEEaNS0_12element_wise11PassThroughES8_NS7_7AddReluELNS_25InMemoryDataOperationEnumE0ENS_16TensorDescriptorINS5_IJNS_5EmbedINS5_IJiiiiEEESD_Lb0EEENS_11PassThroughIiEENS_3PadIiiiLb0EEESI_SG_SG_NSC_INS5_IJiiEEESJ_Lb0EEESK_SG_NS_23Merge_v2_magic_divisionINS5_IJiiiEEEEESN_NS_8RightPadIiiLb0EEESP_NS_7UnMergeISJ_Lb0EEESG_EEENS5_IJNS_8SequenceIJLi0EEEENST_IJLi1EEEENST_IJLi2EEEENST_IJLi3EEEENST_IJLi4EEEENST_IJLi5EEEENST_IJLi6EEEENST_IJLi7EEEENST_IJLi8EEEENST_IJLi9ELi11ELi13EEEENST_IJLi10ELi12ELi14EEEENST_IJLi15EEEENST_IJLi16EEEENST_IJLi18EEEENST_IJLi17EEEEEEENS5_IJNST_IJLi1ELi2ELi3ELi4EEEESZ_S10_S11_S12_NST_IJLi9EEEENST_IJLi10ELi11EEEENST_IJLi12ELi13EEEENST_IJLi14EEEES15_S16_S18_S17_NST_IJLi19ELi20EEEENST_IJLi21EEEEEEENST_IJLi19ELi21ELi20EEEElEENSB_INS5_IJSR_SP_SP_SR_SG_EEENS5_IJSU_SV_SW_SY_SX_EEENS5_IJNST_IJLi1ELi2EEEESX_SY_NST_IJLi5ELi6EEEES11_EEENST_IJLi5ELi7ELi6EEEElEENSB_INS5_IJSK_SP_SP_EEENS5_IJSU_SV_SW_EEENS5_IJS1M_SX_SY_EEENST_IJLi3ELi4EEEElEELi128ELi128ELi16ELi4ELi4ELi4ELi1ENST_IJLi8ELi2EEEES1W_NST_IJLi8ELi1ELi1ELi4EEEENST_IJLi2ELi1ELi128ELi1EEEENST_IJLi1ELi2ELi0ELi3EEEES1Z_NST_IJLi4ELi1ELi1ELi4EEEES1Z_NST_IJLi1ELi1ELi1ELi4EEEES1X_S1Y_S1Z_S1Z_S20_S1Z_S21_NST_IJLi0ELi1ELi2ELi3ELi4ELi5EEEELi5ELi4EEEaNS5_IJPKaEEEaS8_S8_S9_NSB_INS5_IJSE_SG_SI_SI_SG_SG_SK_SK_SG_SN_SN_SP_SP_SR_SG_SG_NSQ_INS5_IJiNS_17integral_constantIiLi128EEEEEELb0EEENSF_INS27_IiLi4EEEEEEEENS5_IJSU_SV_SW_SX_SY_SZ_S10_S11_S12_S13_S14_S15_S16_S17_S18_NST_IJLi19EEEES1G_NST_IJLi20EEEEEEENS5_IJS1A_SZ_S10_S11_S12_S1B_S1C_S1D_S1E_S15_S16_S18_S17_S1F_S1G_NST_IJLi22EEEENST_IJLi23ELi24EEEENST_IJLi25EEEEEEENST_IJLi22ELi23ELi24ELi25EEEElEENSB_INS5_IJSR_SP_SP_SR_SG_SG_S2A_S2C_EEENS5_IJSU_SV_SW_SY_SX_SZ_S11_S10_EEENS5_IJS1M_SX_SY_S1N_S11_S12_NST_IJLi9ELi10EEEENST_IJLi11EEEEEEENST_IJLi8ELi9ELi10ELi11EEEElEENS5_IJNSB_INS5_IJSK_SP_SP_NSQ_INS5_IJiNS27_IiLi2EEENS27_IiLi64EEEEEELb0EEES2X_EEENS5_IJSU_SV_SW_SX_SY_EEENS5_IJS1M_SX_SY_NST_IJLi5ELi6ELi7EEEENST_IJLi8ELi9ELi10EEEEEEENST_IJLi5ELi6ELi7ELi8ELi9ELi10EEEElEEEEES34_NS_31BlockToCTileMap_M00_N00_M01_N01ILi128ELi128ES1V_Lb0EEENS1_30ComputePtrOffsetOfStridedBatchILi1ELi1ELi1EvEELb1ELb1EEEvPKT0_S3C_T1_PT2_T3_T4_T5_iT6_T7_T8_T9_T10_T11_.kd
    .uniform_work_group_size: 1
    .uses_dynamic_stack: false
    .vgpr_count:     113
    .vgpr_spill_count: 0
    .wavefront_size: 32
    .workgroup_processor_mode: 1
  - .args:
      - .address_space:  global
        .offset:         0
        .size:           8
        .value_kind:     global_buffer
      - .address_space:  global
        .offset:         8
        .size:           8
        .value_kind:     global_buffer
      - .address_space:  global
        .offset:         16
        .size:           8
        .value_kind:     global_buffer
      - .address_space:  global
        .offset:         24
        .size:           8
        .value_kind:     global_buffer
      - .offset:         32
        .size:           1
        .value_kind:     by_value
      - .offset:         33
        .size:           1
        .value_kind:     by_value
      - .offset:         34
        .size:           1
        .value_kind:     by_value
      - .offset:         36
        .size:           4
        .value_kind:     by_value
      - .offset:         40
        .size:           264
        .value_kind:     by_value
      - .offset:         304
        .size:           96
        .value_kind:     by_value
      - .offset:         400
        .size:           80
        .value_kind:     by_value
      - .offset:         480
        .size:           80
        .value_kind:     by_value
      - .offset:         560
        .size:           112
        .value_kind:     by_value
      - .offset:         672
        .size:           40
        .value_kind:     by_value
      - .offset:         712
        .size:           4
        .value_kind:     hidden_block_count_x
      - .offset:         716
        .size:           4
        .value_kind:     hidden_block_count_y
      - .offset:         720
        .size:           4
        .value_kind:     hidden_block_count_z
      - .offset:         724
        .size:           2
        .value_kind:     hidden_group_size_x
      - .offset:         726
        .size:           2
        .value_kind:     hidden_group_size_y
      - .offset:         728
        .size:           2
        .value_kind:     hidden_group_size_z
      - .offset:         730
        .size:           2
        .value_kind:     hidden_remainder_x
      - .offset:         732
        .size:           2
        .value_kind:     hidden_remainder_y
      - .offset:         734
        .size:           2
        .value_kind:     hidden_remainder_z
      - .offset:         752
        .size:           8
        .value_kind:     hidden_global_offset_x
      - .offset:         760
        .size:           8
        .value_kind:     hidden_global_offset_y
      - .offset:         768
        .size:           8
        .value_kind:     hidden_global_offset_z
      - .offset:         776
        .size:           2
        .value_kind:     hidden_grid_dims
    .group_segment_fixed_size: 32768
    .kernarg_segment_align: 8
    .kernarg_segment_size: 968
    .language:       OpenCL C
    .language_version:
      - 2
      - 0
    .max_flat_workgroup_size: 256
    .name:           _ZN2ck16tensor_operation6device12_GLOBAL__N_137kernel_grouped_conv_fwd_dl_multiple_dINS_32GridwiseGemmDlMultipleD_km_kn_mnILi256EaiNS_5TupleIJaEEEaNS0_12element_wise11PassThroughES8_NS7_7AddReluELNS_25InMemoryDataOperationEnumE0ENS_16TensorDescriptorINS5_IJNS_5EmbedINS5_IJiiiiEEESD_Lb0EEENS_11PassThroughIiEENS_3PadIiiiLb0EEESI_SG_SG_NSC_INS5_IJiiEEESJ_Lb0EEESK_SG_NS_23Merge_v2_magic_divisionINS5_IJiiiEEEEESN_NS_8RightPadIiiLb0EEESP_NS_7UnMergeISJ_Lb0EEESG_EEENS5_IJNS_8SequenceIJLi0EEEENST_IJLi1EEEENST_IJLi2EEEENST_IJLi3EEEENST_IJLi4EEEENST_IJLi5EEEENST_IJLi6EEEENST_IJLi7EEEENST_IJLi8EEEENST_IJLi9ELi11ELi13EEEENST_IJLi10ELi12ELi14EEEENST_IJLi15EEEENST_IJLi16EEEENST_IJLi18EEEENST_IJLi17EEEEEEENS5_IJNST_IJLi1ELi2ELi3ELi4EEEESZ_S10_S11_S12_NST_IJLi9EEEENST_IJLi10ELi11EEEENST_IJLi12ELi13EEEENST_IJLi14EEEES15_S16_S18_S17_NST_IJLi19ELi20EEEENST_IJLi21EEEEEEENST_IJLi19ELi21ELi20EEEElEENSB_INS5_IJSR_SP_SP_SR_SG_EEENS5_IJSU_SV_SW_SY_SX_EEENS5_IJNST_IJLi1ELi2EEEESX_SY_NST_IJLi5ELi6EEEES11_EEENST_IJLi5ELi7ELi6EEEElEENSB_INS5_IJSK_SP_SP_EEENS5_IJSU_SV_SW_EEENS5_IJS1M_SX_SY_EEENST_IJLi3ELi4EEEElEELi128ELi128ELi16ELi4ELi4ELi4ELi1ENST_IJLi8ELi2EEEES1W_NST_IJLi8ELi1ELi1ELi4EEEENST_IJLi2ELi1ELi128ELi1EEEENST_IJLi1ELi2ELi0ELi3EEEES1Z_NST_IJLi4ELi1ELi1ELi4EEEES1Z_NST_IJLi1ELi1ELi1ELi4EEEES1X_S1Y_S1Z_S1Z_S20_S1Z_S21_NST_IJLi0ELi1ELi2ELi3ELi4ELi5EEEELi5ELi4EEEaNS5_IJPKaEEEaS8_S8_S9_NSB_INS5_IJSE_SG_SI_SI_SG_SG_SK_SK_SG_SN_SN_SP_SP_SR_SG_SG_NSQ_INS5_IJiNS_17integral_constantIiLi128EEEEEELb0EEENSF_INS27_IiLi4EEEEEEEENS5_IJSU_SV_SW_SX_SY_SZ_S10_S11_S12_S13_S14_S15_S16_S17_S18_NST_IJLi19EEEES1G_NST_IJLi20EEEEEEENS5_IJS1A_SZ_S10_S11_S12_S1B_S1C_S1D_S1E_S15_S16_S18_S17_S1F_S1G_NST_IJLi22EEEENST_IJLi23ELi24EEEENST_IJLi25EEEEEEENST_IJLi22ELi23ELi24ELi25EEEElEENSB_INS5_IJSR_SP_SP_SR_SG_SG_S2A_S2C_EEENS5_IJSU_SV_SW_SY_SX_SZ_S11_S10_EEENS5_IJS1M_SX_SY_S1N_S11_S12_NST_IJLi9ELi10EEEENST_IJLi11EEEEEEENST_IJLi8ELi9ELi10ELi11EEEElEENS5_IJNSB_INS5_IJSK_SP_SP_NSQ_INS5_IJiNS27_IiLi2EEENS27_IiLi64EEEEEELb0EEES2X_EEENS5_IJSU_SV_SW_SX_SY_EEENS5_IJS1M_SX_SY_NST_IJLi5ELi6ELi7EEEENST_IJLi8ELi9ELi10EEEEEEENST_IJLi5ELi6ELi7ELi8ELi9ELi10EEEElEEEEES34_NS_31BlockToCTileMap_M00_N00_M01_N01ILi128ELi128ES1V_Lb0EEENS1_30ComputePtrOffsetOfStridedBatchILi1ELi1ELi1EvEELb1ELb0EEEvPKT0_S3C_T1_PT2_T3_T4_T5_iT6_T7_T8_T9_T10_T11_
    .private_segment_fixed_size: 480
    .sgpr_count:     91
    .sgpr_spill_count: 0
    .symbol:         _ZN2ck16tensor_operation6device12_GLOBAL__N_137kernel_grouped_conv_fwd_dl_multiple_dINS_32GridwiseGemmDlMultipleD_km_kn_mnILi256EaiNS_5TupleIJaEEEaNS0_12element_wise11PassThroughES8_NS7_7AddReluELNS_25InMemoryDataOperationEnumE0ENS_16TensorDescriptorINS5_IJNS_5EmbedINS5_IJiiiiEEESD_Lb0EEENS_11PassThroughIiEENS_3PadIiiiLb0EEESI_SG_SG_NSC_INS5_IJiiEEESJ_Lb0EEESK_SG_NS_23Merge_v2_magic_divisionINS5_IJiiiEEEEESN_NS_8RightPadIiiLb0EEESP_NS_7UnMergeISJ_Lb0EEESG_EEENS5_IJNS_8SequenceIJLi0EEEENST_IJLi1EEEENST_IJLi2EEEENST_IJLi3EEEENST_IJLi4EEEENST_IJLi5EEEENST_IJLi6EEEENST_IJLi7EEEENST_IJLi8EEEENST_IJLi9ELi11ELi13EEEENST_IJLi10ELi12ELi14EEEENST_IJLi15EEEENST_IJLi16EEEENST_IJLi18EEEENST_IJLi17EEEEEEENS5_IJNST_IJLi1ELi2ELi3ELi4EEEESZ_S10_S11_S12_NST_IJLi9EEEENST_IJLi10ELi11EEEENST_IJLi12ELi13EEEENST_IJLi14EEEES15_S16_S18_S17_NST_IJLi19ELi20EEEENST_IJLi21EEEEEEENST_IJLi19ELi21ELi20EEEElEENSB_INS5_IJSR_SP_SP_SR_SG_EEENS5_IJSU_SV_SW_SY_SX_EEENS5_IJNST_IJLi1ELi2EEEESX_SY_NST_IJLi5ELi6EEEES11_EEENST_IJLi5ELi7ELi6EEEElEENSB_INS5_IJSK_SP_SP_EEENS5_IJSU_SV_SW_EEENS5_IJS1M_SX_SY_EEENST_IJLi3ELi4EEEElEELi128ELi128ELi16ELi4ELi4ELi4ELi1ENST_IJLi8ELi2EEEES1W_NST_IJLi8ELi1ELi1ELi4EEEENST_IJLi2ELi1ELi128ELi1EEEENST_IJLi1ELi2ELi0ELi3EEEES1Z_NST_IJLi4ELi1ELi1ELi4EEEES1Z_NST_IJLi1ELi1ELi1ELi4EEEES1X_S1Y_S1Z_S1Z_S20_S1Z_S21_NST_IJLi0ELi1ELi2ELi3ELi4ELi5EEEELi5ELi4EEEaNS5_IJPKaEEEaS8_S8_S9_NSB_INS5_IJSE_SG_SI_SI_SG_SG_SK_SK_SG_SN_SN_SP_SP_SR_SG_SG_NSQ_INS5_IJiNS_17integral_constantIiLi128EEEEEELb0EEENSF_INS27_IiLi4EEEEEEEENS5_IJSU_SV_SW_SX_SY_SZ_S10_S11_S12_S13_S14_S15_S16_S17_S18_NST_IJLi19EEEES1G_NST_IJLi20EEEEEEENS5_IJS1A_SZ_S10_S11_S12_S1B_S1C_S1D_S1E_S15_S16_S18_S17_S1F_S1G_NST_IJLi22EEEENST_IJLi23ELi24EEEENST_IJLi25EEEEEEENST_IJLi22ELi23ELi24ELi25EEEElEENSB_INS5_IJSR_SP_SP_SR_SG_SG_S2A_S2C_EEENS5_IJSU_SV_SW_SY_SX_SZ_S11_S10_EEENS5_IJS1M_SX_SY_S1N_S11_S12_NST_IJLi9ELi10EEEENST_IJLi11EEEEEEENST_IJLi8ELi9ELi10ELi11EEEElEENS5_IJNSB_INS5_IJSK_SP_SP_NSQ_INS5_IJiNS27_IiLi2EEENS27_IiLi64EEEEEELb0EEES2X_EEENS5_IJSU_SV_SW_SX_SY_EEENS5_IJS1M_SX_SY_NST_IJLi5ELi6ELi7EEEENST_IJLi8ELi9ELi10EEEEEEENST_IJLi5ELi6ELi7ELi8ELi9ELi10EEEElEEEEES34_NS_31BlockToCTileMap_M00_N00_M01_N01ILi128ELi128ES1V_Lb0EEENS1_30ComputePtrOffsetOfStridedBatchILi1ELi1ELi1EvEELb1ELb0EEEvPKT0_S3C_T1_PT2_T3_T4_T5_iT6_T7_T8_T9_T10_T11_.kd
    .uniform_work_group_size: 1
    .uses_dynamic_stack: false
    .vgpr_count:     111
    .vgpr_spill_count: 0
    .wavefront_size: 32
    .workgroup_processor_mode: 1
  - .args:
      - .address_space:  global
        .offset:         0
        .size:           8
        .value_kind:     global_buffer
      - .address_space:  global
        .offset:         8
        .size:           8
        .value_kind:     global_buffer
      - .address_space:  global
        .offset:         16
        .size:           8
        .value_kind:     global_buffer
      - .address_space:  global
        .offset:         24
        .size:           8
        .value_kind:     global_buffer
      - .offset:         32
        .size:           1
        .value_kind:     by_value
      - .offset:         33
        .size:           1
        .value_kind:     by_value
      - .offset:         34
        .size:           1
        .value_kind:     by_value
      - .offset:         36
        .size:           4
        .value_kind:     by_value
      - .offset:         40
        .size:           264
        .value_kind:     by_value
      - .offset:         304
        .size:           96
        .value_kind:     by_value
      - .offset:         400
        .size:           80
        .value_kind:     by_value
      - .offset:         480
        .size:           80
        .value_kind:     by_value
      - .offset:         560
        .size:           112
        .value_kind:     by_value
      - .offset:         672
        .size:           40
        .value_kind:     by_value
      - .offset:         712
        .size:           4
        .value_kind:     hidden_block_count_x
      - .offset:         716
        .size:           4
        .value_kind:     hidden_block_count_y
      - .offset:         720
        .size:           4
        .value_kind:     hidden_block_count_z
      - .offset:         724
        .size:           2
        .value_kind:     hidden_group_size_x
      - .offset:         726
        .size:           2
        .value_kind:     hidden_group_size_y
      - .offset:         728
        .size:           2
        .value_kind:     hidden_group_size_z
      - .offset:         730
        .size:           2
        .value_kind:     hidden_remainder_x
      - .offset:         732
        .size:           2
        .value_kind:     hidden_remainder_y
      - .offset:         734
        .size:           2
        .value_kind:     hidden_remainder_z
      - .offset:         752
        .size:           8
        .value_kind:     hidden_global_offset_x
      - .offset:         760
        .size:           8
        .value_kind:     hidden_global_offset_y
      - .offset:         768
        .size:           8
        .value_kind:     hidden_global_offset_z
      - .offset:         776
        .size:           2
        .value_kind:     hidden_grid_dims
    .group_segment_fixed_size: 32768
    .kernarg_segment_align: 8
    .kernarg_segment_size: 968
    .language:       OpenCL C
    .language_version:
      - 2
      - 0
    .max_flat_workgroup_size: 256
    .name:           _ZN2ck16tensor_operation6device12_GLOBAL__N_137kernel_grouped_conv_fwd_dl_multiple_dINS_32GridwiseGemmDlMultipleD_km_kn_mnILi256EaiNS_5TupleIJaEEEaNS0_12element_wise11PassThroughES8_NS7_7AddReluELNS_25InMemoryDataOperationEnumE0ENS_16TensorDescriptorINS5_IJNS_5EmbedINS5_IJiiiiEEESD_Lb0EEENS_11PassThroughIiEENS_3PadIiiiLb0EEESI_SG_SG_NSC_INS5_IJiiEEESJ_Lb0EEESK_SG_NS_23Merge_v2_magic_divisionINS5_IJiiiEEEEESN_NS_8RightPadIiiLb0EEESP_NS_7UnMergeISJ_Lb0EEESG_EEENS5_IJNS_8SequenceIJLi0EEEENST_IJLi1EEEENST_IJLi2EEEENST_IJLi3EEEENST_IJLi4EEEENST_IJLi5EEEENST_IJLi6EEEENST_IJLi7EEEENST_IJLi8EEEENST_IJLi9ELi11ELi13EEEENST_IJLi10ELi12ELi14EEEENST_IJLi15EEEENST_IJLi16EEEENST_IJLi18EEEENST_IJLi17EEEEEEENS5_IJNST_IJLi1ELi2ELi3ELi4EEEESZ_S10_S11_S12_NST_IJLi9EEEENST_IJLi10ELi11EEEENST_IJLi12ELi13EEEENST_IJLi14EEEES15_S16_S18_S17_NST_IJLi19ELi20EEEENST_IJLi21EEEEEEENST_IJLi19ELi21ELi20EEEElEENSB_INS5_IJSR_SP_SP_SR_SG_EEENS5_IJSU_SV_SW_SY_SX_EEENS5_IJNST_IJLi1ELi2EEEESX_SY_NST_IJLi5ELi6EEEES11_EEENST_IJLi5ELi7ELi6EEEElEENSB_INS5_IJSK_SP_SP_EEENS5_IJSU_SV_SW_EEENS5_IJS1M_SX_SY_EEENST_IJLi3ELi4EEEElEELi128ELi128ELi16ELi4ELi4ELi4ELi1ENST_IJLi8ELi2EEEES1W_NST_IJLi8ELi1ELi1ELi4EEEENST_IJLi2ELi1ELi128ELi1EEEENST_IJLi1ELi2ELi0ELi3EEEES1Z_NST_IJLi4ELi1ELi1ELi4EEEES1Z_NST_IJLi1ELi1ELi1ELi4EEEES1X_S1Y_S1Z_S1Z_S20_S1Z_S21_NST_IJLi0ELi1ELi2ELi3ELi4ELi5EEEELi5ELi4EEEaNS5_IJPKaEEEaS8_S8_S9_NSB_INS5_IJSE_SG_SI_SI_SG_SG_SK_SK_SG_SN_SN_SP_SP_SR_SG_SG_NSQ_INS5_IJiNS_17integral_constantIiLi128EEEEEELb0EEENSF_INS27_IiLi4EEEEEEEENS5_IJSU_SV_SW_SX_SY_SZ_S10_S11_S12_S13_S14_S15_S16_S17_S18_NST_IJLi19EEEES1G_NST_IJLi20EEEEEEENS5_IJS1A_SZ_S10_S11_S12_S1B_S1C_S1D_S1E_S15_S16_S18_S17_S1F_S1G_NST_IJLi22EEEENST_IJLi23ELi24EEEENST_IJLi25EEEEEEENST_IJLi22ELi23ELi24ELi25EEEElEENSB_INS5_IJSR_SP_SP_SR_SG_SG_S2A_S2C_EEENS5_IJSU_SV_SW_SY_SX_SZ_S11_S10_EEENS5_IJS1M_SX_SY_S1N_S11_S12_NST_IJLi9ELi10EEEENST_IJLi11EEEEEEENST_IJLi8ELi9ELi10ELi11EEEElEENS5_IJNSB_INS5_IJSK_SP_SP_NSQ_INS5_IJiNS27_IiLi2EEENS27_IiLi64EEEEEELb0EEES2X_EEENS5_IJSU_SV_SW_SX_SY_EEENS5_IJS1M_SX_SY_NST_IJLi5ELi6ELi7EEEENST_IJLi8ELi9ELi10EEEEEEENST_IJLi5ELi6ELi7ELi8ELi9ELi10EEEElEEEEES34_NS_31BlockToCTileMap_M00_N00_M01_N01ILi128ELi128ES1V_Lb0EEENS1_30ComputePtrOffsetOfStridedBatchILi1ELi1ELi1EvEELb0ELb1EEEvPKT0_S3C_T1_PT2_T3_T4_T5_iT6_T7_T8_T9_T10_T11_
    .private_segment_fixed_size: 480
    .sgpr_count:     86
    .sgpr_spill_count: 0
    .symbol:         _ZN2ck16tensor_operation6device12_GLOBAL__N_137kernel_grouped_conv_fwd_dl_multiple_dINS_32GridwiseGemmDlMultipleD_km_kn_mnILi256EaiNS_5TupleIJaEEEaNS0_12element_wise11PassThroughES8_NS7_7AddReluELNS_25InMemoryDataOperationEnumE0ENS_16TensorDescriptorINS5_IJNS_5EmbedINS5_IJiiiiEEESD_Lb0EEENS_11PassThroughIiEENS_3PadIiiiLb0EEESI_SG_SG_NSC_INS5_IJiiEEESJ_Lb0EEESK_SG_NS_23Merge_v2_magic_divisionINS5_IJiiiEEEEESN_NS_8RightPadIiiLb0EEESP_NS_7UnMergeISJ_Lb0EEESG_EEENS5_IJNS_8SequenceIJLi0EEEENST_IJLi1EEEENST_IJLi2EEEENST_IJLi3EEEENST_IJLi4EEEENST_IJLi5EEEENST_IJLi6EEEENST_IJLi7EEEENST_IJLi8EEEENST_IJLi9ELi11ELi13EEEENST_IJLi10ELi12ELi14EEEENST_IJLi15EEEENST_IJLi16EEEENST_IJLi18EEEENST_IJLi17EEEEEEENS5_IJNST_IJLi1ELi2ELi3ELi4EEEESZ_S10_S11_S12_NST_IJLi9EEEENST_IJLi10ELi11EEEENST_IJLi12ELi13EEEENST_IJLi14EEEES15_S16_S18_S17_NST_IJLi19ELi20EEEENST_IJLi21EEEEEEENST_IJLi19ELi21ELi20EEEElEENSB_INS5_IJSR_SP_SP_SR_SG_EEENS5_IJSU_SV_SW_SY_SX_EEENS5_IJNST_IJLi1ELi2EEEESX_SY_NST_IJLi5ELi6EEEES11_EEENST_IJLi5ELi7ELi6EEEElEENSB_INS5_IJSK_SP_SP_EEENS5_IJSU_SV_SW_EEENS5_IJS1M_SX_SY_EEENST_IJLi3ELi4EEEElEELi128ELi128ELi16ELi4ELi4ELi4ELi1ENST_IJLi8ELi2EEEES1W_NST_IJLi8ELi1ELi1ELi4EEEENST_IJLi2ELi1ELi128ELi1EEEENST_IJLi1ELi2ELi0ELi3EEEES1Z_NST_IJLi4ELi1ELi1ELi4EEEES1Z_NST_IJLi1ELi1ELi1ELi4EEEES1X_S1Y_S1Z_S1Z_S20_S1Z_S21_NST_IJLi0ELi1ELi2ELi3ELi4ELi5EEEELi5ELi4EEEaNS5_IJPKaEEEaS8_S8_S9_NSB_INS5_IJSE_SG_SI_SI_SG_SG_SK_SK_SG_SN_SN_SP_SP_SR_SG_SG_NSQ_INS5_IJiNS_17integral_constantIiLi128EEEEEELb0EEENSF_INS27_IiLi4EEEEEEEENS5_IJSU_SV_SW_SX_SY_SZ_S10_S11_S12_S13_S14_S15_S16_S17_S18_NST_IJLi19EEEES1G_NST_IJLi20EEEEEEENS5_IJS1A_SZ_S10_S11_S12_S1B_S1C_S1D_S1E_S15_S16_S18_S17_S1F_S1G_NST_IJLi22EEEENST_IJLi23ELi24EEEENST_IJLi25EEEEEEENST_IJLi22ELi23ELi24ELi25EEEElEENSB_INS5_IJSR_SP_SP_SR_SG_SG_S2A_S2C_EEENS5_IJSU_SV_SW_SY_SX_SZ_S11_S10_EEENS5_IJS1M_SX_SY_S1N_S11_S12_NST_IJLi9ELi10EEEENST_IJLi11EEEEEEENST_IJLi8ELi9ELi10ELi11EEEElEENS5_IJNSB_INS5_IJSK_SP_SP_NSQ_INS5_IJiNS27_IiLi2EEENS27_IiLi64EEEEEELb0EEES2X_EEENS5_IJSU_SV_SW_SX_SY_EEENS5_IJS1M_SX_SY_NST_IJLi5ELi6ELi7EEEENST_IJLi8ELi9ELi10EEEEEEENST_IJLi5ELi6ELi7ELi8ELi9ELi10EEEElEEEEES34_NS_31BlockToCTileMap_M00_N00_M01_N01ILi128ELi128ES1V_Lb0EEENS1_30ComputePtrOffsetOfStridedBatchILi1ELi1ELi1EvEELb0ELb1EEEvPKT0_S3C_T1_PT2_T3_T4_T5_iT6_T7_T8_T9_T10_T11_.kd
    .uniform_work_group_size: 1
    .uses_dynamic_stack: false
    .vgpr_count:     90
    .vgpr_spill_count: 0
    .wavefront_size: 32
    .workgroup_processor_mode: 1
  - .args:
      - .address_space:  global
        .offset:         0
        .size:           8
        .value_kind:     global_buffer
      - .address_space:  global
        .offset:         8
        .size:           8
        .value_kind:     global_buffer
      - .address_space:  global
        .offset:         16
        .size:           8
        .value_kind:     global_buffer
      - .address_space:  global
        .offset:         24
        .size:           8
        .value_kind:     global_buffer
      - .offset:         32
        .size:           1
        .value_kind:     by_value
      - .offset:         33
        .size:           1
        .value_kind:     by_value
      - .offset:         34
        .size:           1
        .value_kind:     by_value
      - .offset:         36
        .size:           4
        .value_kind:     by_value
      - .offset:         40
        .size:           264
        .value_kind:     by_value
      - .offset:         304
        .size:           96
        .value_kind:     by_value
      - .offset:         400
        .size:           80
        .value_kind:     by_value
      - .offset:         480
        .size:           80
        .value_kind:     by_value
      - .offset:         560
        .size:           112
        .value_kind:     by_value
      - .offset:         672
        .size:           40
        .value_kind:     by_value
      - .offset:         712
        .size:           4
        .value_kind:     hidden_block_count_x
      - .offset:         716
        .size:           4
        .value_kind:     hidden_block_count_y
      - .offset:         720
        .size:           4
        .value_kind:     hidden_block_count_z
      - .offset:         724
        .size:           2
        .value_kind:     hidden_group_size_x
      - .offset:         726
        .size:           2
        .value_kind:     hidden_group_size_y
      - .offset:         728
        .size:           2
        .value_kind:     hidden_group_size_z
      - .offset:         730
        .size:           2
        .value_kind:     hidden_remainder_x
      - .offset:         732
        .size:           2
        .value_kind:     hidden_remainder_y
      - .offset:         734
        .size:           2
        .value_kind:     hidden_remainder_z
      - .offset:         752
        .size:           8
        .value_kind:     hidden_global_offset_x
      - .offset:         760
        .size:           8
        .value_kind:     hidden_global_offset_y
      - .offset:         768
        .size:           8
        .value_kind:     hidden_global_offset_z
      - .offset:         776
        .size:           2
        .value_kind:     hidden_grid_dims
    .group_segment_fixed_size: 32768
    .kernarg_segment_align: 8
    .kernarg_segment_size: 968
    .language:       OpenCL C
    .language_version:
      - 2
      - 0
    .max_flat_workgroup_size: 256
    .name:           _ZN2ck16tensor_operation6device12_GLOBAL__N_137kernel_grouped_conv_fwd_dl_multiple_dINS_32GridwiseGemmDlMultipleD_km_kn_mnILi256EaiNS_5TupleIJaEEEaNS0_12element_wise11PassThroughES8_NS7_7AddReluELNS_25InMemoryDataOperationEnumE0ENS_16TensorDescriptorINS5_IJNS_5EmbedINS5_IJiiiiEEESD_Lb0EEENS_11PassThroughIiEENS_3PadIiiiLb0EEESI_SG_SG_NSC_INS5_IJiiEEESJ_Lb0EEESK_SG_NS_23Merge_v2_magic_divisionINS5_IJiiiEEEEESN_NS_8RightPadIiiLb0EEESP_NS_7UnMergeISJ_Lb0EEESG_EEENS5_IJNS_8SequenceIJLi0EEEENST_IJLi1EEEENST_IJLi2EEEENST_IJLi3EEEENST_IJLi4EEEENST_IJLi5EEEENST_IJLi6EEEENST_IJLi7EEEENST_IJLi8EEEENST_IJLi9ELi11ELi13EEEENST_IJLi10ELi12ELi14EEEENST_IJLi15EEEENST_IJLi16EEEENST_IJLi18EEEENST_IJLi17EEEEEEENS5_IJNST_IJLi1ELi2ELi3ELi4EEEESZ_S10_S11_S12_NST_IJLi9EEEENST_IJLi10ELi11EEEENST_IJLi12ELi13EEEENST_IJLi14EEEES15_S16_S18_S17_NST_IJLi19ELi20EEEENST_IJLi21EEEEEEENST_IJLi19ELi21ELi20EEEElEENSB_INS5_IJSR_SP_SP_SR_SG_EEENS5_IJSU_SV_SW_SY_SX_EEENS5_IJNST_IJLi1ELi2EEEESX_SY_NST_IJLi5ELi6EEEES11_EEENST_IJLi5ELi7ELi6EEEElEENSB_INS5_IJSK_SP_SP_EEENS5_IJSU_SV_SW_EEENS5_IJS1M_SX_SY_EEENST_IJLi3ELi4EEEElEELi128ELi128ELi16ELi4ELi4ELi4ELi1ENST_IJLi8ELi2EEEES1W_NST_IJLi8ELi1ELi1ELi4EEEENST_IJLi2ELi1ELi128ELi1EEEENST_IJLi1ELi2ELi0ELi3EEEES1Z_NST_IJLi4ELi1ELi1ELi4EEEES1Z_NST_IJLi1ELi1ELi1ELi4EEEES1X_S1Y_S1Z_S1Z_S20_S1Z_S21_NST_IJLi0ELi1ELi2ELi3ELi4ELi5EEEELi5ELi4EEEaNS5_IJPKaEEEaS8_S8_S9_NSB_INS5_IJSE_SG_SI_SI_SG_SG_SK_SK_SG_SN_SN_SP_SP_SR_SG_SG_NSQ_INS5_IJiNS_17integral_constantIiLi128EEEEEELb0EEENSF_INS27_IiLi4EEEEEEEENS5_IJSU_SV_SW_SX_SY_SZ_S10_S11_S12_S13_S14_S15_S16_S17_S18_NST_IJLi19EEEES1G_NST_IJLi20EEEEEEENS5_IJS1A_SZ_S10_S11_S12_S1B_S1C_S1D_S1E_S15_S16_S18_S17_S1F_S1G_NST_IJLi22EEEENST_IJLi23ELi24EEEENST_IJLi25EEEEEEENST_IJLi22ELi23ELi24ELi25EEEElEENSB_INS5_IJSR_SP_SP_SR_SG_SG_S2A_S2C_EEENS5_IJSU_SV_SW_SY_SX_SZ_S11_S10_EEENS5_IJS1M_SX_SY_S1N_S11_S12_NST_IJLi9ELi10EEEENST_IJLi11EEEEEEENST_IJLi8ELi9ELi10ELi11EEEElEENS5_IJNSB_INS5_IJSK_SP_SP_NSQ_INS5_IJiNS27_IiLi2EEENS27_IiLi64EEEEEELb0EEES2X_EEENS5_IJSU_SV_SW_SX_SY_EEENS5_IJS1M_SX_SY_NST_IJLi5ELi6ELi7EEEENST_IJLi8ELi9ELi10EEEEEEENST_IJLi5ELi6ELi7ELi8ELi9ELi10EEEElEEEEES34_NS_31BlockToCTileMap_M00_N00_M01_N01ILi128ELi128ES1V_Lb0EEENS1_30ComputePtrOffsetOfStridedBatchILi1ELi1ELi1EvEELb0ELb0EEEvPKT0_S3C_T1_PT2_T3_T4_T5_iT6_T7_T8_T9_T10_T11_
    .private_segment_fixed_size: 448
    .sgpr_count:     86
    .sgpr_spill_count: 0
    .symbol:         _ZN2ck16tensor_operation6device12_GLOBAL__N_137kernel_grouped_conv_fwd_dl_multiple_dINS_32GridwiseGemmDlMultipleD_km_kn_mnILi256EaiNS_5TupleIJaEEEaNS0_12element_wise11PassThroughES8_NS7_7AddReluELNS_25InMemoryDataOperationEnumE0ENS_16TensorDescriptorINS5_IJNS_5EmbedINS5_IJiiiiEEESD_Lb0EEENS_11PassThroughIiEENS_3PadIiiiLb0EEESI_SG_SG_NSC_INS5_IJiiEEESJ_Lb0EEESK_SG_NS_23Merge_v2_magic_divisionINS5_IJiiiEEEEESN_NS_8RightPadIiiLb0EEESP_NS_7UnMergeISJ_Lb0EEESG_EEENS5_IJNS_8SequenceIJLi0EEEENST_IJLi1EEEENST_IJLi2EEEENST_IJLi3EEEENST_IJLi4EEEENST_IJLi5EEEENST_IJLi6EEEENST_IJLi7EEEENST_IJLi8EEEENST_IJLi9ELi11ELi13EEEENST_IJLi10ELi12ELi14EEEENST_IJLi15EEEENST_IJLi16EEEENST_IJLi18EEEENST_IJLi17EEEEEEENS5_IJNST_IJLi1ELi2ELi3ELi4EEEESZ_S10_S11_S12_NST_IJLi9EEEENST_IJLi10ELi11EEEENST_IJLi12ELi13EEEENST_IJLi14EEEES15_S16_S18_S17_NST_IJLi19ELi20EEEENST_IJLi21EEEEEEENST_IJLi19ELi21ELi20EEEElEENSB_INS5_IJSR_SP_SP_SR_SG_EEENS5_IJSU_SV_SW_SY_SX_EEENS5_IJNST_IJLi1ELi2EEEESX_SY_NST_IJLi5ELi6EEEES11_EEENST_IJLi5ELi7ELi6EEEElEENSB_INS5_IJSK_SP_SP_EEENS5_IJSU_SV_SW_EEENS5_IJS1M_SX_SY_EEENST_IJLi3ELi4EEEElEELi128ELi128ELi16ELi4ELi4ELi4ELi1ENST_IJLi8ELi2EEEES1W_NST_IJLi8ELi1ELi1ELi4EEEENST_IJLi2ELi1ELi128ELi1EEEENST_IJLi1ELi2ELi0ELi3EEEES1Z_NST_IJLi4ELi1ELi1ELi4EEEES1Z_NST_IJLi1ELi1ELi1ELi4EEEES1X_S1Y_S1Z_S1Z_S20_S1Z_S21_NST_IJLi0ELi1ELi2ELi3ELi4ELi5EEEELi5ELi4EEEaNS5_IJPKaEEEaS8_S8_S9_NSB_INS5_IJSE_SG_SI_SI_SG_SG_SK_SK_SG_SN_SN_SP_SP_SR_SG_SG_NSQ_INS5_IJiNS_17integral_constantIiLi128EEEEEELb0EEENSF_INS27_IiLi4EEEEEEEENS5_IJSU_SV_SW_SX_SY_SZ_S10_S11_S12_S13_S14_S15_S16_S17_S18_NST_IJLi19EEEES1G_NST_IJLi20EEEEEEENS5_IJS1A_SZ_S10_S11_S12_S1B_S1C_S1D_S1E_S15_S16_S18_S17_S1F_S1G_NST_IJLi22EEEENST_IJLi23ELi24EEEENST_IJLi25EEEEEEENST_IJLi22ELi23ELi24ELi25EEEElEENSB_INS5_IJSR_SP_SP_SR_SG_SG_S2A_S2C_EEENS5_IJSU_SV_SW_SY_SX_SZ_S11_S10_EEENS5_IJS1M_SX_SY_S1N_S11_S12_NST_IJLi9ELi10EEEENST_IJLi11EEEEEEENST_IJLi8ELi9ELi10ELi11EEEElEENS5_IJNSB_INS5_IJSK_SP_SP_NSQ_INS5_IJiNS27_IiLi2EEENS27_IiLi64EEEEEELb0EEES2X_EEENS5_IJSU_SV_SW_SX_SY_EEENS5_IJS1M_SX_SY_NST_IJLi5ELi6ELi7EEEENST_IJLi8ELi9ELi10EEEEEEENST_IJLi5ELi6ELi7ELi8ELi9ELi10EEEElEEEEES34_NS_31BlockToCTileMap_M00_N00_M01_N01ILi128ELi128ES1V_Lb0EEENS1_30ComputePtrOffsetOfStridedBatchILi1ELi1ELi1EvEELb0ELb0EEEvPKT0_S3C_T1_PT2_T3_T4_T5_iT6_T7_T8_T9_T10_T11_.kd
    .uniform_work_group_size: 1
    .uses_dynamic_stack: false
    .vgpr_count:     90
    .vgpr_spill_count: 0
    .wavefront_size: 32
    .workgroup_processor_mode: 1
  - .args:
      - .address_space:  global
        .offset:         0
        .size:           8
        .value_kind:     global_buffer
      - .address_space:  global
        .offset:         8
        .size:           8
        .value_kind:     global_buffer
      - .address_space:  global
        .offset:         16
        .size:           8
        .value_kind:     global_buffer
      - .address_space:  global
        .offset:         24
        .size:           8
        .value_kind:     global_buffer
      - .offset:         32
        .size:           1
        .value_kind:     by_value
      - .offset:         33
        .size:           1
        .value_kind:     by_value
      - .offset:         34
        .size:           1
        .value_kind:     by_value
      - .offset:         36
        .size:           4
        .value_kind:     by_value
      - .offset:         40
        .size:           320
        .value_kind:     by_value
      - .offset:         360
        .size:           96
        .value_kind:     by_value
      - .offset:         456
        .size:           80
        .value_kind:     by_value
      - .offset:         536
        .size:           80
        .value_kind:     by_value
      - .offset:         616
        .size:           112
        .value_kind:     by_value
      - .offset:         728
        .size:           40
        .value_kind:     by_value
      - .offset:         768
        .size:           4
        .value_kind:     hidden_block_count_x
      - .offset:         772
        .size:           4
        .value_kind:     hidden_block_count_y
      - .offset:         776
        .size:           4
        .value_kind:     hidden_block_count_z
      - .offset:         780
        .size:           2
        .value_kind:     hidden_group_size_x
      - .offset:         782
        .size:           2
        .value_kind:     hidden_group_size_y
      - .offset:         784
        .size:           2
        .value_kind:     hidden_group_size_z
      - .offset:         786
        .size:           2
        .value_kind:     hidden_remainder_x
      - .offset:         788
        .size:           2
        .value_kind:     hidden_remainder_y
      - .offset:         790
        .size:           2
        .value_kind:     hidden_remainder_z
      - .offset:         808
        .size:           8
        .value_kind:     hidden_global_offset_x
      - .offset:         816
        .size:           8
        .value_kind:     hidden_global_offset_y
      - .offset:         824
        .size:           8
        .value_kind:     hidden_global_offset_z
      - .offset:         832
        .size:           2
        .value_kind:     hidden_grid_dims
    .group_segment_fixed_size: 32768
    .kernarg_segment_align: 8
    .kernarg_segment_size: 1024
    .language:       OpenCL C
    .language_version:
      - 2
      - 0
    .max_flat_workgroup_size: 256
    .name:           _ZN2ck16tensor_operation6device12_GLOBAL__N_137kernel_grouped_conv_fwd_dl_multiple_dINS_32GridwiseGemmDlMultipleD_km_kn_mnILi256EaiNS_5TupleIJaEEEaNS0_12element_wise11PassThroughES8_NS7_7AddReluELNS_25InMemoryDataOperationEnumE0ENS_16TensorDescriptorINS5_IJNS_5EmbedINS5_IJiiiiiEEESD_Lb0EEENS_11PassThroughIiEENS_3PadIiiiLb0EEESI_SI_SG_SG_NSC_INS5_IJiiEEESJ_Lb0EEESK_SK_SG_NS_23Merge_v2_magic_divisionINS5_IJiiiiEEEEESN_NS_8RightPadIiiLb0EEESP_NS_7UnMergeISJ_Lb0EEESG_EEENS5_IJNS_8SequenceIJLi0EEEENST_IJLi1EEEENST_IJLi2EEEENST_IJLi3EEEENST_IJLi4EEEENST_IJLi5EEEENST_IJLi6EEEENST_IJLi7EEEENST_IJLi8EEEENST_IJLi9EEEENST_IJLi10EEEENST_IJLi11ELi13ELi15ELi17EEEENST_IJLi12ELi14ELi16ELi18EEEENST_IJLi19EEEENST_IJLi20EEEENST_IJLi22EEEENST_IJLi21EEEEEEENS5_IJNST_IJLi1ELi2ELi3ELi4ELi5EEEES10_S11_S12_S13_S14_NST_IJLi11EEEENST_IJLi12ELi13EEEENST_IJLi14ELi15EEEENST_IJLi16ELi17EEEENST_IJLi18EEEES17_S18_S1A_S19_NST_IJLi23ELi24EEEENST_IJLi25EEEEEEENST_IJLi23ELi25ELi24EEEElEENSB_INS5_IJSR_SP_SP_SR_SG_EEENS5_IJSU_SV_SW_SY_SX_EEENS5_IJNST_IJLi1ELi2EEEESX_SY_NST_IJLi5ELi6EEEES11_EEENST_IJLi5ELi7ELi6EEEElEENSB_INS5_IJSK_SP_SP_EEENS5_IJSU_SV_SW_EEENS5_IJS1P_SX_SY_EEENST_IJLi3ELi4EEEElEELi128ELi128ELi16ELi4ELi4ELi4ELi1ENST_IJLi8ELi2EEEES1Z_NST_IJLi8ELi1ELi1ELi4EEEENST_IJLi2ELi1ELi128ELi1EEEENST_IJLi1ELi2ELi0ELi3EEEES22_NST_IJLi4ELi1ELi1ELi4EEEES22_NST_IJLi1ELi1ELi1ELi4EEEES20_S21_S22_S22_S23_S22_S24_NST_IJLi0ELi1ELi2ELi3ELi4ELi5EEEELi5ELi4EEEaNS5_IJPKaEEEaS8_S8_S9_NSB_INS5_IJSE_SG_SI_SI_SI_SG_SG_SK_SK_SK_SG_SN_SN_SP_SP_SR_SG_SG_NSQ_INS5_IJiNS_17integral_constantIiLi128EEEEEELb0EEENSF_INS2A_IiLi4EEEEEEEENS5_IJSU_SV_SW_SX_SY_SZ_S10_S11_S12_S13_S14_S15_S16_S17_S18_S19_S1A_NST_IJLi23EEEES1J_NST_IJLi24EEEEEEENS5_IJS1C_S10_S11_S12_S13_S14_S1D_S1E_S1F_S1G_S1H_S17_S18_S1A_S19_S1I_S1J_NST_IJLi26EEEENST_IJLi27ELi28EEEENST_IJLi29EEEEEEENST_IJLi26ELi27ELi28ELi29EEEElEENSB_INS5_IJSR_SP_SP_SR_SG_SG_S2D_S2F_EEENS5_IJSU_SV_SW_SY_SX_SZ_S11_S10_EEENS5_IJS1P_SX_SY_S1Q_S11_S12_NST_IJLi9ELi10EEEES1D_EEENST_IJLi8ELi9ELi10ELi11EEEElEENS5_IJNSB_INS5_IJSK_SP_SP_NSQ_INS5_IJiNS2A_IiLi2EEENS2A_IiLi64EEEEEELb0EEES2Z_EEENS5_IJSU_SV_SW_SX_SY_EEENS5_IJS1P_SX_SY_NST_IJLi5ELi6ELi7EEEENST_IJLi8ELi9ELi10EEEEEEENST_IJLi5ELi6ELi7ELi8ELi9ELi10EEEElEEEEES36_NS_31BlockToCTileMap_M00_N00_M01_N01ILi128ELi128ES1Y_Lb0EEENS1_30ComputePtrOffsetOfStridedBatchILi1ELi1ELi1EvEELb1ELb1EEEvPKT0_S3E_T1_PT2_T3_T4_T5_iT6_T7_T8_T9_T10_T11_
    .private_segment_fixed_size: 480
    .sgpr_count:     102
    .sgpr_spill_count: 0
    .symbol:         _ZN2ck16tensor_operation6device12_GLOBAL__N_137kernel_grouped_conv_fwd_dl_multiple_dINS_32GridwiseGemmDlMultipleD_km_kn_mnILi256EaiNS_5TupleIJaEEEaNS0_12element_wise11PassThroughES8_NS7_7AddReluELNS_25InMemoryDataOperationEnumE0ENS_16TensorDescriptorINS5_IJNS_5EmbedINS5_IJiiiiiEEESD_Lb0EEENS_11PassThroughIiEENS_3PadIiiiLb0EEESI_SI_SG_SG_NSC_INS5_IJiiEEESJ_Lb0EEESK_SK_SG_NS_23Merge_v2_magic_divisionINS5_IJiiiiEEEEESN_NS_8RightPadIiiLb0EEESP_NS_7UnMergeISJ_Lb0EEESG_EEENS5_IJNS_8SequenceIJLi0EEEENST_IJLi1EEEENST_IJLi2EEEENST_IJLi3EEEENST_IJLi4EEEENST_IJLi5EEEENST_IJLi6EEEENST_IJLi7EEEENST_IJLi8EEEENST_IJLi9EEEENST_IJLi10EEEENST_IJLi11ELi13ELi15ELi17EEEENST_IJLi12ELi14ELi16ELi18EEEENST_IJLi19EEEENST_IJLi20EEEENST_IJLi22EEEENST_IJLi21EEEEEEENS5_IJNST_IJLi1ELi2ELi3ELi4ELi5EEEES10_S11_S12_S13_S14_NST_IJLi11EEEENST_IJLi12ELi13EEEENST_IJLi14ELi15EEEENST_IJLi16ELi17EEEENST_IJLi18EEEES17_S18_S1A_S19_NST_IJLi23ELi24EEEENST_IJLi25EEEEEEENST_IJLi23ELi25ELi24EEEElEENSB_INS5_IJSR_SP_SP_SR_SG_EEENS5_IJSU_SV_SW_SY_SX_EEENS5_IJNST_IJLi1ELi2EEEESX_SY_NST_IJLi5ELi6EEEES11_EEENST_IJLi5ELi7ELi6EEEElEENSB_INS5_IJSK_SP_SP_EEENS5_IJSU_SV_SW_EEENS5_IJS1P_SX_SY_EEENST_IJLi3ELi4EEEElEELi128ELi128ELi16ELi4ELi4ELi4ELi1ENST_IJLi8ELi2EEEES1Z_NST_IJLi8ELi1ELi1ELi4EEEENST_IJLi2ELi1ELi128ELi1EEEENST_IJLi1ELi2ELi0ELi3EEEES22_NST_IJLi4ELi1ELi1ELi4EEEES22_NST_IJLi1ELi1ELi1ELi4EEEES20_S21_S22_S22_S23_S22_S24_NST_IJLi0ELi1ELi2ELi3ELi4ELi5EEEELi5ELi4EEEaNS5_IJPKaEEEaS8_S8_S9_NSB_INS5_IJSE_SG_SI_SI_SI_SG_SG_SK_SK_SK_SG_SN_SN_SP_SP_SR_SG_SG_NSQ_INS5_IJiNS_17integral_constantIiLi128EEEEEELb0EEENSF_INS2A_IiLi4EEEEEEEENS5_IJSU_SV_SW_SX_SY_SZ_S10_S11_S12_S13_S14_S15_S16_S17_S18_S19_S1A_NST_IJLi23EEEES1J_NST_IJLi24EEEEEEENS5_IJS1C_S10_S11_S12_S13_S14_S1D_S1E_S1F_S1G_S1H_S17_S18_S1A_S19_S1I_S1J_NST_IJLi26EEEENST_IJLi27ELi28EEEENST_IJLi29EEEEEEENST_IJLi26ELi27ELi28ELi29EEEElEENSB_INS5_IJSR_SP_SP_SR_SG_SG_S2D_S2F_EEENS5_IJSU_SV_SW_SY_SX_SZ_S11_S10_EEENS5_IJS1P_SX_SY_S1Q_S11_S12_NST_IJLi9ELi10EEEES1D_EEENST_IJLi8ELi9ELi10ELi11EEEElEENS5_IJNSB_INS5_IJSK_SP_SP_NSQ_INS5_IJiNS2A_IiLi2EEENS2A_IiLi64EEEEEELb0EEES2Z_EEENS5_IJSU_SV_SW_SX_SY_EEENS5_IJS1P_SX_SY_NST_IJLi5ELi6ELi7EEEENST_IJLi8ELi9ELi10EEEEEEENST_IJLi5ELi6ELi7ELi8ELi9ELi10EEEElEEEEES36_NS_31BlockToCTileMap_M00_N00_M01_N01ILi128ELi128ES1Y_Lb0EEENS1_30ComputePtrOffsetOfStridedBatchILi1ELi1ELi1EvEELb1ELb1EEEvPKT0_S3E_T1_PT2_T3_T4_T5_iT6_T7_T8_T9_T10_T11_.kd
    .uniform_work_group_size: 1
    .uses_dynamic_stack: false
    .vgpr_count:     115
    .vgpr_spill_count: 0
    .wavefront_size: 32
    .workgroup_processor_mode: 1
  - .args:
      - .address_space:  global
        .offset:         0
        .size:           8
        .value_kind:     global_buffer
      - .address_space:  global
        .offset:         8
        .size:           8
        .value_kind:     global_buffer
      - .address_space:  global
        .offset:         16
        .size:           8
        .value_kind:     global_buffer
      - .address_space:  global
        .offset:         24
        .size:           8
        .value_kind:     global_buffer
      - .offset:         32
        .size:           1
        .value_kind:     by_value
      - .offset:         33
        .size:           1
        .value_kind:     by_value
      - .offset:         34
        .size:           1
        .value_kind:     by_value
      - .offset:         36
        .size:           4
        .value_kind:     by_value
      - .offset:         40
        .size:           320
        .value_kind:     by_value
      - .offset:         360
        .size:           96
        .value_kind:     by_value
      - .offset:         456
        .size:           80
        .value_kind:     by_value
      - .offset:         536
        .size:           80
        .value_kind:     by_value
      - .offset:         616
        .size:           112
        .value_kind:     by_value
      - .offset:         728
        .size:           40
        .value_kind:     by_value
      - .offset:         768
        .size:           4
        .value_kind:     hidden_block_count_x
      - .offset:         772
        .size:           4
        .value_kind:     hidden_block_count_y
      - .offset:         776
        .size:           4
        .value_kind:     hidden_block_count_z
      - .offset:         780
        .size:           2
        .value_kind:     hidden_group_size_x
      - .offset:         782
        .size:           2
        .value_kind:     hidden_group_size_y
      - .offset:         784
        .size:           2
        .value_kind:     hidden_group_size_z
      - .offset:         786
        .size:           2
        .value_kind:     hidden_remainder_x
      - .offset:         788
        .size:           2
        .value_kind:     hidden_remainder_y
      - .offset:         790
        .size:           2
        .value_kind:     hidden_remainder_z
      - .offset:         808
        .size:           8
        .value_kind:     hidden_global_offset_x
      - .offset:         816
        .size:           8
        .value_kind:     hidden_global_offset_y
      - .offset:         824
        .size:           8
        .value_kind:     hidden_global_offset_z
      - .offset:         832
        .size:           2
        .value_kind:     hidden_grid_dims
    .group_segment_fixed_size: 32768
    .kernarg_segment_align: 8
    .kernarg_segment_size: 1024
    .language:       OpenCL C
    .language_version:
      - 2
      - 0
    .max_flat_workgroup_size: 256
    .name:           _ZN2ck16tensor_operation6device12_GLOBAL__N_137kernel_grouped_conv_fwd_dl_multiple_dINS_32GridwiseGemmDlMultipleD_km_kn_mnILi256EaiNS_5TupleIJaEEEaNS0_12element_wise11PassThroughES8_NS7_7AddReluELNS_25InMemoryDataOperationEnumE0ENS_16TensorDescriptorINS5_IJNS_5EmbedINS5_IJiiiiiEEESD_Lb0EEENS_11PassThroughIiEENS_3PadIiiiLb0EEESI_SI_SG_SG_NSC_INS5_IJiiEEESJ_Lb0EEESK_SK_SG_NS_23Merge_v2_magic_divisionINS5_IJiiiiEEEEESN_NS_8RightPadIiiLb0EEESP_NS_7UnMergeISJ_Lb0EEESG_EEENS5_IJNS_8SequenceIJLi0EEEENST_IJLi1EEEENST_IJLi2EEEENST_IJLi3EEEENST_IJLi4EEEENST_IJLi5EEEENST_IJLi6EEEENST_IJLi7EEEENST_IJLi8EEEENST_IJLi9EEEENST_IJLi10EEEENST_IJLi11ELi13ELi15ELi17EEEENST_IJLi12ELi14ELi16ELi18EEEENST_IJLi19EEEENST_IJLi20EEEENST_IJLi22EEEENST_IJLi21EEEEEEENS5_IJNST_IJLi1ELi2ELi3ELi4ELi5EEEES10_S11_S12_S13_S14_NST_IJLi11EEEENST_IJLi12ELi13EEEENST_IJLi14ELi15EEEENST_IJLi16ELi17EEEENST_IJLi18EEEES17_S18_S1A_S19_NST_IJLi23ELi24EEEENST_IJLi25EEEEEEENST_IJLi23ELi25ELi24EEEElEENSB_INS5_IJSR_SP_SP_SR_SG_EEENS5_IJSU_SV_SW_SY_SX_EEENS5_IJNST_IJLi1ELi2EEEESX_SY_NST_IJLi5ELi6EEEES11_EEENST_IJLi5ELi7ELi6EEEElEENSB_INS5_IJSK_SP_SP_EEENS5_IJSU_SV_SW_EEENS5_IJS1P_SX_SY_EEENST_IJLi3ELi4EEEElEELi128ELi128ELi16ELi4ELi4ELi4ELi1ENST_IJLi8ELi2EEEES1Z_NST_IJLi8ELi1ELi1ELi4EEEENST_IJLi2ELi1ELi128ELi1EEEENST_IJLi1ELi2ELi0ELi3EEEES22_NST_IJLi4ELi1ELi1ELi4EEEES22_NST_IJLi1ELi1ELi1ELi4EEEES20_S21_S22_S22_S23_S22_S24_NST_IJLi0ELi1ELi2ELi3ELi4ELi5EEEELi5ELi4EEEaNS5_IJPKaEEEaS8_S8_S9_NSB_INS5_IJSE_SG_SI_SI_SI_SG_SG_SK_SK_SK_SG_SN_SN_SP_SP_SR_SG_SG_NSQ_INS5_IJiNS_17integral_constantIiLi128EEEEEELb0EEENSF_INS2A_IiLi4EEEEEEEENS5_IJSU_SV_SW_SX_SY_SZ_S10_S11_S12_S13_S14_S15_S16_S17_S18_S19_S1A_NST_IJLi23EEEES1J_NST_IJLi24EEEEEEENS5_IJS1C_S10_S11_S12_S13_S14_S1D_S1E_S1F_S1G_S1H_S17_S18_S1A_S19_S1I_S1J_NST_IJLi26EEEENST_IJLi27ELi28EEEENST_IJLi29EEEEEEENST_IJLi26ELi27ELi28ELi29EEEElEENSB_INS5_IJSR_SP_SP_SR_SG_SG_S2D_S2F_EEENS5_IJSU_SV_SW_SY_SX_SZ_S11_S10_EEENS5_IJS1P_SX_SY_S1Q_S11_S12_NST_IJLi9ELi10EEEES1D_EEENST_IJLi8ELi9ELi10ELi11EEEElEENS5_IJNSB_INS5_IJSK_SP_SP_NSQ_INS5_IJiNS2A_IiLi2EEENS2A_IiLi64EEEEEELb0EEES2Z_EEENS5_IJSU_SV_SW_SX_SY_EEENS5_IJS1P_SX_SY_NST_IJLi5ELi6ELi7EEEENST_IJLi8ELi9ELi10EEEEEEENST_IJLi5ELi6ELi7ELi8ELi9ELi10EEEElEEEEES36_NS_31BlockToCTileMap_M00_N00_M01_N01ILi128ELi128ES1Y_Lb0EEENS1_30ComputePtrOffsetOfStridedBatchILi1ELi1ELi1EvEELb1ELb0EEEvPKT0_S3E_T1_PT2_T3_T4_T5_iT6_T7_T8_T9_T10_T11_
    .private_segment_fixed_size: 480
    .sgpr_count:     99
    .sgpr_spill_count: 0
    .symbol:         _ZN2ck16tensor_operation6device12_GLOBAL__N_137kernel_grouped_conv_fwd_dl_multiple_dINS_32GridwiseGemmDlMultipleD_km_kn_mnILi256EaiNS_5TupleIJaEEEaNS0_12element_wise11PassThroughES8_NS7_7AddReluELNS_25InMemoryDataOperationEnumE0ENS_16TensorDescriptorINS5_IJNS_5EmbedINS5_IJiiiiiEEESD_Lb0EEENS_11PassThroughIiEENS_3PadIiiiLb0EEESI_SI_SG_SG_NSC_INS5_IJiiEEESJ_Lb0EEESK_SK_SG_NS_23Merge_v2_magic_divisionINS5_IJiiiiEEEEESN_NS_8RightPadIiiLb0EEESP_NS_7UnMergeISJ_Lb0EEESG_EEENS5_IJNS_8SequenceIJLi0EEEENST_IJLi1EEEENST_IJLi2EEEENST_IJLi3EEEENST_IJLi4EEEENST_IJLi5EEEENST_IJLi6EEEENST_IJLi7EEEENST_IJLi8EEEENST_IJLi9EEEENST_IJLi10EEEENST_IJLi11ELi13ELi15ELi17EEEENST_IJLi12ELi14ELi16ELi18EEEENST_IJLi19EEEENST_IJLi20EEEENST_IJLi22EEEENST_IJLi21EEEEEEENS5_IJNST_IJLi1ELi2ELi3ELi4ELi5EEEES10_S11_S12_S13_S14_NST_IJLi11EEEENST_IJLi12ELi13EEEENST_IJLi14ELi15EEEENST_IJLi16ELi17EEEENST_IJLi18EEEES17_S18_S1A_S19_NST_IJLi23ELi24EEEENST_IJLi25EEEEEEENST_IJLi23ELi25ELi24EEEElEENSB_INS5_IJSR_SP_SP_SR_SG_EEENS5_IJSU_SV_SW_SY_SX_EEENS5_IJNST_IJLi1ELi2EEEESX_SY_NST_IJLi5ELi6EEEES11_EEENST_IJLi5ELi7ELi6EEEElEENSB_INS5_IJSK_SP_SP_EEENS5_IJSU_SV_SW_EEENS5_IJS1P_SX_SY_EEENST_IJLi3ELi4EEEElEELi128ELi128ELi16ELi4ELi4ELi4ELi1ENST_IJLi8ELi2EEEES1Z_NST_IJLi8ELi1ELi1ELi4EEEENST_IJLi2ELi1ELi128ELi1EEEENST_IJLi1ELi2ELi0ELi3EEEES22_NST_IJLi4ELi1ELi1ELi4EEEES22_NST_IJLi1ELi1ELi1ELi4EEEES20_S21_S22_S22_S23_S22_S24_NST_IJLi0ELi1ELi2ELi3ELi4ELi5EEEELi5ELi4EEEaNS5_IJPKaEEEaS8_S8_S9_NSB_INS5_IJSE_SG_SI_SI_SI_SG_SG_SK_SK_SK_SG_SN_SN_SP_SP_SR_SG_SG_NSQ_INS5_IJiNS_17integral_constantIiLi128EEEEEELb0EEENSF_INS2A_IiLi4EEEEEEEENS5_IJSU_SV_SW_SX_SY_SZ_S10_S11_S12_S13_S14_S15_S16_S17_S18_S19_S1A_NST_IJLi23EEEES1J_NST_IJLi24EEEEEEENS5_IJS1C_S10_S11_S12_S13_S14_S1D_S1E_S1F_S1G_S1H_S17_S18_S1A_S19_S1I_S1J_NST_IJLi26EEEENST_IJLi27ELi28EEEENST_IJLi29EEEEEEENST_IJLi26ELi27ELi28ELi29EEEElEENSB_INS5_IJSR_SP_SP_SR_SG_SG_S2D_S2F_EEENS5_IJSU_SV_SW_SY_SX_SZ_S11_S10_EEENS5_IJS1P_SX_SY_S1Q_S11_S12_NST_IJLi9ELi10EEEES1D_EEENST_IJLi8ELi9ELi10ELi11EEEElEENS5_IJNSB_INS5_IJSK_SP_SP_NSQ_INS5_IJiNS2A_IiLi2EEENS2A_IiLi64EEEEEELb0EEES2Z_EEENS5_IJSU_SV_SW_SX_SY_EEENS5_IJS1P_SX_SY_NST_IJLi5ELi6ELi7EEEENST_IJLi8ELi9ELi10EEEEEEENST_IJLi5ELi6ELi7ELi8ELi9ELi10EEEElEEEEES36_NS_31BlockToCTileMap_M00_N00_M01_N01ILi128ELi128ES1Y_Lb0EEENS1_30ComputePtrOffsetOfStridedBatchILi1ELi1ELi1EvEELb1ELb0EEEvPKT0_S3E_T1_PT2_T3_T4_T5_iT6_T7_T8_T9_T10_T11_.kd
    .uniform_work_group_size: 1
    .uses_dynamic_stack: false
    .vgpr_count:     113
    .vgpr_spill_count: 0
    .wavefront_size: 32
    .workgroup_processor_mode: 1
  - .args:
      - .address_space:  global
        .offset:         0
        .size:           8
        .value_kind:     global_buffer
      - .address_space:  global
        .offset:         8
        .size:           8
        .value_kind:     global_buffer
      - .address_space:  global
        .offset:         16
        .size:           8
        .value_kind:     global_buffer
      - .address_space:  global
        .offset:         24
        .size:           8
        .value_kind:     global_buffer
      - .offset:         32
        .size:           1
        .value_kind:     by_value
      - .offset:         33
        .size:           1
        .value_kind:     by_value
      - .offset:         34
        .size:           1
        .value_kind:     by_value
      - .offset:         36
        .size:           4
        .value_kind:     by_value
      - .offset:         40
        .size:           320
        .value_kind:     by_value
      - .offset:         360
        .size:           96
        .value_kind:     by_value
      - .offset:         456
        .size:           80
        .value_kind:     by_value
      - .offset:         536
        .size:           80
        .value_kind:     by_value
      - .offset:         616
        .size:           112
        .value_kind:     by_value
      - .offset:         728
        .size:           40
        .value_kind:     by_value
      - .offset:         768
        .size:           4
        .value_kind:     hidden_block_count_x
      - .offset:         772
        .size:           4
        .value_kind:     hidden_block_count_y
      - .offset:         776
        .size:           4
        .value_kind:     hidden_block_count_z
      - .offset:         780
        .size:           2
        .value_kind:     hidden_group_size_x
      - .offset:         782
        .size:           2
        .value_kind:     hidden_group_size_y
      - .offset:         784
        .size:           2
        .value_kind:     hidden_group_size_z
      - .offset:         786
        .size:           2
        .value_kind:     hidden_remainder_x
      - .offset:         788
        .size:           2
        .value_kind:     hidden_remainder_y
      - .offset:         790
        .size:           2
        .value_kind:     hidden_remainder_z
      - .offset:         808
        .size:           8
        .value_kind:     hidden_global_offset_x
      - .offset:         816
        .size:           8
        .value_kind:     hidden_global_offset_y
      - .offset:         824
        .size:           8
        .value_kind:     hidden_global_offset_z
      - .offset:         832
        .size:           2
        .value_kind:     hidden_grid_dims
    .group_segment_fixed_size: 32768
    .kernarg_segment_align: 8
    .kernarg_segment_size: 1024
    .language:       OpenCL C
    .language_version:
      - 2
      - 0
    .max_flat_workgroup_size: 256
    .name:           _ZN2ck16tensor_operation6device12_GLOBAL__N_137kernel_grouped_conv_fwd_dl_multiple_dINS_32GridwiseGemmDlMultipleD_km_kn_mnILi256EaiNS_5TupleIJaEEEaNS0_12element_wise11PassThroughES8_NS7_7AddReluELNS_25InMemoryDataOperationEnumE0ENS_16TensorDescriptorINS5_IJNS_5EmbedINS5_IJiiiiiEEESD_Lb0EEENS_11PassThroughIiEENS_3PadIiiiLb0EEESI_SI_SG_SG_NSC_INS5_IJiiEEESJ_Lb0EEESK_SK_SG_NS_23Merge_v2_magic_divisionINS5_IJiiiiEEEEESN_NS_8RightPadIiiLb0EEESP_NS_7UnMergeISJ_Lb0EEESG_EEENS5_IJNS_8SequenceIJLi0EEEENST_IJLi1EEEENST_IJLi2EEEENST_IJLi3EEEENST_IJLi4EEEENST_IJLi5EEEENST_IJLi6EEEENST_IJLi7EEEENST_IJLi8EEEENST_IJLi9EEEENST_IJLi10EEEENST_IJLi11ELi13ELi15ELi17EEEENST_IJLi12ELi14ELi16ELi18EEEENST_IJLi19EEEENST_IJLi20EEEENST_IJLi22EEEENST_IJLi21EEEEEEENS5_IJNST_IJLi1ELi2ELi3ELi4ELi5EEEES10_S11_S12_S13_S14_NST_IJLi11EEEENST_IJLi12ELi13EEEENST_IJLi14ELi15EEEENST_IJLi16ELi17EEEENST_IJLi18EEEES17_S18_S1A_S19_NST_IJLi23ELi24EEEENST_IJLi25EEEEEEENST_IJLi23ELi25ELi24EEEElEENSB_INS5_IJSR_SP_SP_SR_SG_EEENS5_IJSU_SV_SW_SY_SX_EEENS5_IJNST_IJLi1ELi2EEEESX_SY_NST_IJLi5ELi6EEEES11_EEENST_IJLi5ELi7ELi6EEEElEENSB_INS5_IJSK_SP_SP_EEENS5_IJSU_SV_SW_EEENS5_IJS1P_SX_SY_EEENST_IJLi3ELi4EEEElEELi128ELi128ELi16ELi4ELi4ELi4ELi1ENST_IJLi8ELi2EEEES1Z_NST_IJLi8ELi1ELi1ELi4EEEENST_IJLi2ELi1ELi128ELi1EEEENST_IJLi1ELi2ELi0ELi3EEEES22_NST_IJLi4ELi1ELi1ELi4EEEES22_NST_IJLi1ELi1ELi1ELi4EEEES20_S21_S22_S22_S23_S22_S24_NST_IJLi0ELi1ELi2ELi3ELi4ELi5EEEELi5ELi4EEEaNS5_IJPKaEEEaS8_S8_S9_NSB_INS5_IJSE_SG_SI_SI_SI_SG_SG_SK_SK_SK_SG_SN_SN_SP_SP_SR_SG_SG_NSQ_INS5_IJiNS_17integral_constantIiLi128EEEEEELb0EEENSF_INS2A_IiLi4EEEEEEEENS5_IJSU_SV_SW_SX_SY_SZ_S10_S11_S12_S13_S14_S15_S16_S17_S18_S19_S1A_NST_IJLi23EEEES1J_NST_IJLi24EEEEEEENS5_IJS1C_S10_S11_S12_S13_S14_S1D_S1E_S1F_S1G_S1H_S17_S18_S1A_S19_S1I_S1J_NST_IJLi26EEEENST_IJLi27ELi28EEEENST_IJLi29EEEEEEENST_IJLi26ELi27ELi28ELi29EEEElEENSB_INS5_IJSR_SP_SP_SR_SG_SG_S2D_S2F_EEENS5_IJSU_SV_SW_SY_SX_SZ_S11_S10_EEENS5_IJS1P_SX_SY_S1Q_S11_S12_NST_IJLi9ELi10EEEES1D_EEENST_IJLi8ELi9ELi10ELi11EEEElEENS5_IJNSB_INS5_IJSK_SP_SP_NSQ_INS5_IJiNS2A_IiLi2EEENS2A_IiLi64EEEEEELb0EEES2Z_EEENS5_IJSU_SV_SW_SX_SY_EEENS5_IJS1P_SX_SY_NST_IJLi5ELi6ELi7EEEENST_IJLi8ELi9ELi10EEEEEEENST_IJLi5ELi6ELi7ELi8ELi9ELi10EEEElEEEEES36_NS_31BlockToCTileMap_M00_N00_M01_N01ILi128ELi128ES1Y_Lb0EEENS1_30ComputePtrOffsetOfStridedBatchILi1ELi1ELi1EvEELb0ELb1EEEvPKT0_S3E_T1_PT2_T3_T4_T5_iT6_T7_T8_T9_T10_T11_
    .private_segment_fixed_size: 480
    .sgpr_count:     92
    .sgpr_spill_count: 0
    .symbol:         _ZN2ck16tensor_operation6device12_GLOBAL__N_137kernel_grouped_conv_fwd_dl_multiple_dINS_32GridwiseGemmDlMultipleD_km_kn_mnILi256EaiNS_5TupleIJaEEEaNS0_12element_wise11PassThroughES8_NS7_7AddReluELNS_25InMemoryDataOperationEnumE0ENS_16TensorDescriptorINS5_IJNS_5EmbedINS5_IJiiiiiEEESD_Lb0EEENS_11PassThroughIiEENS_3PadIiiiLb0EEESI_SI_SG_SG_NSC_INS5_IJiiEEESJ_Lb0EEESK_SK_SG_NS_23Merge_v2_magic_divisionINS5_IJiiiiEEEEESN_NS_8RightPadIiiLb0EEESP_NS_7UnMergeISJ_Lb0EEESG_EEENS5_IJNS_8SequenceIJLi0EEEENST_IJLi1EEEENST_IJLi2EEEENST_IJLi3EEEENST_IJLi4EEEENST_IJLi5EEEENST_IJLi6EEEENST_IJLi7EEEENST_IJLi8EEEENST_IJLi9EEEENST_IJLi10EEEENST_IJLi11ELi13ELi15ELi17EEEENST_IJLi12ELi14ELi16ELi18EEEENST_IJLi19EEEENST_IJLi20EEEENST_IJLi22EEEENST_IJLi21EEEEEEENS5_IJNST_IJLi1ELi2ELi3ELi4ELi5EEEES10_S11_S12_S13_S14_NST_IJLi11EEEENST_IJLi12ELi13EEEENST_IJLi14ELi15EEEENST_IJLi16ELi17EEEENST_IJLi18EEEES17_S18_S1A_S19_NST_IJLi23ELi24EEEENST_IJLi25EEEEEEENST_IJLi23ELi25ELi24EEEElEENSB_INS5_IJSR_SP_SP_SR_SG_EEENS5_IJSU_SV_SW_SY_SX_EEENS5_IJNST_IJLi1ELi2EEEESX_SY_NST_IJLi5ELi6EEEES11_EEENST_IJLi5ELi7ELi6EEEElEENSB_INS5_IJSK_SP_SP_EEENS5_IJSU_SV_SW_EEENS5_IJS1P_SX_SY_EEENST_IJLi3ELi4EEEElEELi128ELi128ELi16ELi4ELi4ELi4ELi1ENST_IJLi8ELi2EEEES1Z_NST_IJLi8ELi1ELi1ELi4EEEENST_IJLi2ELi1ELi128ELi1EEEENST_IJLi1ELi2ELi0ELi3EEEES22_NST_IJLi4ELi1ELi1ELi4EEEES22_NST_IJLi1ELi1ELi1ELi4EEEES20_S21_S22_S22_S23_S22_S24_NST_IJLi0ELi1ELi2ELi3ELi4ELi5EEEELi5ELi4EEEaNS5_IJPKaEEEaS8_S8_S9_NSB_INS5_IJSE_SG_SI_SI_SI_SG_SG_SK_SK_SK_SG_SN_SN_SP_SP_SR_SG_SG_NSQ_INS5_IJiNS_17integral_constantIiLi128EEEEEELb0EEENSF_INS2A_IiLi4EEEEEEEENS5_IJSU_SV_SW_SX_SY_SZ_S10_S11_S12_S13_S14_S15_S16_S17_S18_S19_S1A_NST_IJLi23EEEES1J_NST_IJLi24EEEEEEENS5_IJS1C_S10_S11_S12_S13_S14_S1D_S1E_S1F_S1G_S1H_S17_S18_S1A_S19_S1I_S1J_NST_IJLi26EEEENST_IJLi27ELi28EEEENST_IJLi29EEEEEEENST_IJLi26ELi27ELi28ELi29EEEElEENSB_INS5_IJSR_SP_SP_SR_SG_SG_S2D_S2F_EEENS5_IJSU_SV_SW_SY_SX_SZ_S11_S10_EEENS5_IJS1P_SX_SY_S1Q_S11_S12_NST_IJLi9ELi10EEEES1D_EEENST_IJLi8ELi9ELi10ELi11EEEElEENS5_IJNSB_INS5_IJSK_SP_SP_NSQ_INS5_IJiNS2A_IiLi2EEENS2A_IiLi64EEEEEELb0EEES2Z_EEENS5_IJSU_SV_SW_SX_SY_EEENS5_IJS1P_SX_SY_NST_IJLi5ELi6ELi7EEEENST_IJLi8ELi9ELi10EEEEEEENST_IJLi5ELi6ELi7ELi8ELi9ELi10EEEElEEEEES36_NS_31BlockToCTileMap_M00_N00_M01_N01ILi128ELi128ES1Y_Lb0EEENS1_30ComputePtrOffsetOfStridedBatchILi1ELi1ELi1EvEELb0ELb1EEEvPKT0_S3E_T1_PT2_T3_T4_T5_iT6_T7_T8_T9_T10_T11_.kd
    .uniform_work_group_size: 1
    .uses_dynamic_stack: false
    .vgpr_count:     90
    .vgpr_spill_count: 0
    .wavefront_size: 32
    .workgroup_processor_mode: 1
  - .args:
      - .address_space:  global
        .offset:         0
        .size:           8
        .value_kind:     global_buffer
      - .address_space:  global
        .offset:         8
        .size:           8
        .value_kind:     global_buffer
      - .address_space:  global
        .offset:         16
        .size:           8
        .value_kind:     global_buffer
      - .address_space:  global
        .offset:         24
        .size:           8
        .value_kind:     global_buffer
      - .offset:         32
        .size:           1
        .value_kind:     by_value
      - .offset:         33
        .size:           1
        .value_kind:     by_value
      - .offset:         34
        .size:           1
        .value_kind:     by_value
      - .offset:         36
        .size:           4
        .value_kind:     by_value
      - .offset:         40
        .size:           320
        .value_kind:     by_value
      - .offset:         360
        .size:           96
        .value_kind:     by_value
      - .offset:         456
        .size:           80
        .value_kind:     by_value
      - .offset:         536
        .size:           80
        .value_kind:     by_value
      - .offset:         616
        .size:           112
        .value_kind:     by_value
      - .offset:         728
        .size:           40
        .value_kind:     by_value
      - .offset:         768
        .size:           4
        .value_kind:     hidden_block_count_x
      - .offset:         772
        .size:           4
        .value_kind:     hidden_block_count_y
      - .offset:         776
        .size:           4
        .value_kind:     hidden_block_count_z
      - .offset:         780
        .size:           2
        .value_kind:     hidden_group_size_x
      - .offset:         782
        .size:           2
        .value_kind:     hidden_group_size_y
      - .offset:         784
        .size:           2
        .value_kind:     hidden_group_size_z
      - .offset:         786
        .size:           2
        .value_kind:     hidden_remainder_x
      - .offset:         788
        .size:           2
        .value_kind:     hidden_remainder_y
      - .offset:         790
        .size:           2
        .value_kind:     hidden_remainder_z
      - .offset:         808
        .size:           8
        .value_kind:     hidden_global_offset_x
      - .offset:         816
        .size:           8
        .value_kind:     hidden_global_offset_y
      - .offset:         824
        .size:           8
        .value_kind:     hidden_global_offset_z
      - .offset:         832
        .size:           2
        .value_kind:     hidden_grid_dims
    .group_segment_fixed_size: 32768
    .kernarg_segment_align: 8
    .kernarg_segment_size: 1024
    .language:       OpenCL C
    .language_version:
      - 2
      - 0
    .max_flat_workgroup_size: 256
    .name:           _ZN2ck16tensor_operation6device12_GLOBAL__N_137kernel_grouped_conv_fwd_dl_multiple_dINS_32GridwiseGemmDlMultipleD_km_kn_mnILi256EaiNS_5TupleIJaEEEaNS0_12element_wise11PassThroughES8_NS7_7AddReluELNS_25InMemoryDataOperationEnumE0ENS_16TensorDescriptorINS5_IJNS_5EmbedINS5_IJiiiiiEEESD_Lb0EEENS_11PassThroughIiEENS_3PadIiiiLb0EEESI_SI_SG_SG_NSC_INS5_IJiiEEESJ_Lb0EEESK_SK_SG_NS_23Merge_v2_magic_divisionINS5_IJiiiiEEEEESN_NS_8RightPadIiiLb0EEESP_NS_7UnMergeISJ_Lb0EEESG_EEENS5_IJNS_8SequenceIJLi0EEEENST_IJLi1EEEENST_IJLi2EEEENST_IJLi3EEEENST_IJLi4EEEENST_IJLi5EEEENST_IJLi6EEEENST_IJLi7EEEENST_IJLi8EEEENST_IJLi9EEEENST_IJLi10EEEENST_IJLi11ELi13ELi15ELi17EEEENST_IJLi12ELi14ELi16ELi18EEEENST_IJLi19EEEENST_IJLi20EEEENST_IJLi22EEEENST_IJLi21EEEEEEENS5_IJNST_IJLi1ELi2ELi3ELi4ELi5EEEES10_S11_S12_S13_S14_NST_IJLi11EEEENST_IJLi12ELi13EEEENST_IJLi14ELi15EEEENST_IJLi16ELi17EEEENST_IJLi18EEEES17_S18_S1A_S19_NST_IJLi23ELi24EEEENST_IJLi25EEEEEEENST_IJLi23ELi25ELi24EEEElEENSB_INS5_IJSR_SP_SP_SR_SG_EEENS5_IJSU_SV_SW_SY_SX_EEENS5_IJNST_IJLi1ELi2EEEESX_SY_NST_IJLi5ELi6EEEES11_EEENST_IJLi5ELi7ELi6EEEElEENSB_INS5_IJSK_SP_SP_EEENS5_IJSU_SV_SW_EEENS5_IJS1P_SX_SY_EEENST_IJLi3ELi4EEEElEELi128ELi128ELi16ELi4ELi4ELi4ELi1ENST_IJLi8ELi2EEEES1Z_NST_IJLi8ELi1ELi1ELi4EEEENST_IJLi2ELi1ELi128ELi1EEEENST_IJLi1ELi2ELi0ELi3EEEES22_NST_IJLi4ELi1ELi1ELi4EEEES22_NST_IJLi1ELi1ELi1ELi4EEEES20_S21_S22_S22_S23_S22_S24_NST_IJLi0ELi1ELi2ELi3ELi4ELi5EEEELi5ELi4EEEaNS5_IJPKaEEEaS8_S8_S9_NSB_INS5_IJSE_SG_SI_SI_SI_SG_SG_SK_SK_SK_SG_SN_SN_SP_SP_SR_SG_SG_NSQ_INS5_IJiNS_17integral_constantIiLi128EEEEEELb0EEENSF_INS2A_IiLi4EEEEEEEENS5_IJSU_SV_SW_SX_SY_SZ_S10_S11_S12_S13_S14_S15_S16_S17_S18_S19_S1A_NST_IJLi23EEEES1J_NST_IJLi24EEEEEEENS5_IJS1C_S10_S11_S12_S13_S14_S1D_S1E_S1F_S1G_S1H_S17_S18_S1A_S19_S1I_S1J_NST_IJLi26EEEENST_IJLi27ELi28EEEENST_IJLi29EEEEEEENST_IJLi26ELi27ELi28ELi29EEEElEENSB_INS5_IJSR_SP_SP_SR_SG_SG_S2D_S2F_EEENS5_IJSU_SV_SW_SY_SX_SZ_S11_S10_EEENS5_IJS1P_SX_SY_S1Q_S11_S12_NST_IJLi9ELi10EEEES1D_EEENST_IJLi8ELi9ELi10ELi11EEEElEENS5_IJNSB_INS5_IJSK_SP_SP_NSQ_INS5_IJiNS2A_IiLi2EEENS2A_IiLi64EEEEEELb0EEES2Z_EEENS5_IJSU_SV_SW_SX_SY_EEENS5_IJS1P_SX_SY_NST_IJLi5ELi6ELi7EEEENST_IJLi8ELi9ELi10EEEEEEENST_IJLi5ELi6ELi7ELi8ELi9ELi10EEEElEEEEES36_NS_31BlockToCTileMap_M00_N00_M01_N01ILi128ELi128ES1Y_Lb0EEENS1_30ComputePtrOffsetOfStridedBatchILi1ELi1ELi1EvEELb0ELb0EEEvPKT0_S3E_T1_PT2_T3_T4_T5_iT6_T7_T8_T9_T10_T11_
    .private_segment_fixed_size: 448
    .sgpr_count:     92
    .sgpr_spill_count: 0
    .symbol:         _ZN2ck16tensor_operation6device12_GLOBAL__N_137kernel_grouped_conv_fwd_dl_multiple_dINS_32GridwiseGemmDlMultipleD_km_kn_mnILi256EaiNS_5TupleIJaEEEaNS0_12element_wise11PassThroughES8_NS7_7AddReluELNS_25InMemoryDataOperationEnumE0ENS_16TensorDescriptorINS5_IJNS_5EmbedINS5_IJiiiiiEEESD_Lb0EEENS_11PassThroughIiEENS_3PadIiiiLb0EEESI_SI_SG_SG_NSC_INS5_IJiiEEESJ_Lb0EEESK_SK_SG_NS_23Merge_v2_magic_divisionINS5_IJiiiiEEEEESN_NS_8RightPadIiiLb0EEESP_NS_7UnMergeISJ_Lb0EEESG_EEENS5_IJNS_8SequenceIJLi0EEEENST_IJLi1EEEENST_IJLi2EEEENST_IJLi3EEEENST_IJLi4EEEENST_IJLi5EEEENST_IJLi6EEEENST_IJLi7EEEENST_IJLi8EEEENST_IJLi9EEEENST_IJLi10EEEENST_IJLi11ELi13ELi15ELi17EEEENST_IJLi12ELi14ELi16ELi18EEEENST_IJLi19EEEENST_IJLi20EEEENST_IJLi22EEEENST_IJLi21EEEEEEENS5_IJNST_IJLi1ELi2ELi3ELi4ELi5EEEES10_S11_S12_S13_S14_NST_IJLi11EEEENST_IJLi12ELi13EEEENST_IJLi14ELi15EEEENST_IJLi16ELi17EEEENST_IJLi18EEEES17_S18_S1A_S19_NST_IJLi23ELi24EEEENST_IJLi25EEEEEEENST_IJLi23ELi25ELi24EEEElEENSB_INS5_IJSR_SP_SP_SR_SG_EEENS5_IJSU_SV_SW_SY_SX_EEENS5_IJNST_IJLi1ELi2EEEESX_SY_NST_IJLi5ELi6EEEES11_EEENST_IJLi5ELi7ELi6EEEElEENSB_INS5_IJSK_SP_SP_EEENS5_IJSU_SV_SW_EEENS5_IJS1P_SX_SY_EEENST_IJLi3ELi4EEEElEELi128ELi128ELi16ELi4ELi4ELi4ELi1ENST_IJLi8ELi2EEEES1Z_NST_IJLi8ELi1ELi1ELi4EEEENST_IJLi2ELi1ELi128ELi1EEEENST_IJLi1ELi2ELi0ELi3EEEES22_NST_IJLi4ELi1ELi1ELi4EEEES22_NST_IJLi1ELi1ELi1ELi4EEEES20_S21_S22_S22_S23_S22_S24_NST_IJLi0ELi1ELi2ELi3ELi4ELi5EEEELi5ELi4EEEaNS5_IJPKaEEEaS8_S8_S9_NSB_INS5_IJSE_SG_SI_SI_SI_SG_SG_SK_SK_SK_SG_SN_SN_SP_SP_SR_SG_SG_NSQ_INS5_IJiNS_17integral_constantIiLi128EEEEEELb0EEENSF_INS2A_IiLi4EEEEEEEENS5_IJSU_SV_SW_SX_SY_SZ_S10_S11_S12_S13_S14_S15_S16_S17_S18_S19_S1A_NST_IJLi23EEEES1J_NST_IJLi24EEEEEEENS5_IJS1C_S10_S11_S12_S13_S14_S1D_S1E_S1F_S1G_S1H_S17_S18_S1A_S19_S1I_S1J_NST_IJLi26EEEENST_IJLi27ELi28EEEENST_IJLi29EEEEEEENST_IJLi26ELi27ELi28ELi29EEEElEENSB_INS5_IJSR_SP_SP_SR_SG_SG_S2D_S2F_EEENS5_IJSU_SV_SW_SY_SX_SZ_S11_S10_EEENS5_IJS1P_SX_SY_S1Q_S11_S12_NST_IJLi9ELi10EEEES1D_EEENST_IJLi8ELi9ELi10ELi11EEEElEENS5_IJNSB_INS5_IJSK_SP_SP_NSQ_INS5_IJiNS2A_IiLi2EEENS2A_IiLi64EEEEEELb0EEES2Z_EEENS5_IJSU_SV_SW_SX_SY_EEENS5_IJS1P_SX_SY_NST_IJLi5ELi6ELi7EEEENST_IJLi8ELi9ELi10EEEEEEENST_IJLi5ELi6ELi7ELi8ELi9ELi10EEEElEEEEES36_NS_31BlockToCTileMap_M00_N00_M01_N01ILi128ELi128ES1Y_Lb0EEENS1_30ComputePtrOffsetOfStridedBatchILi1ELi1ELi1EvEELb0ELb0EEEvPKT0_S3E_T1_PT2_T3_T4_T5_iT6_T7_T8_T9_T10_T11_.kd
    .uniform_work_group_size: 1
    .uses_dynamic_stack: false
    .vgpr_count:     90
    .vgpr_spill_count: 0
    .wavefront_size: 32
    .workgroup_processor_mode: 1
amdhsa.target:   amdgcn-amd-amdhsa--gfx1100
amdhsa.version:
  - 1
  - 2
...

	.end_amdgpu_metadata
